;; amdgpu-corpus repo=ROCm/rocFFT kind=compiled arch=gfx1201 opt=O3
	.text
	.amdgcn_target "amdgcn-amd-amdhsa--gfx1201"
	.amdhsa_code_object_version 6
	.protected	fft_rtc_back_len169_factors_13_13_wgs_156_tpt_13_half_ip_CI_sbcc_twdbase8_3step_dirReg ; -- Begin function fft_rtc_back_len169_factors_13_13_wgs_156_tpt_13_half_ip_CI_sbcc_twdbase8_3step_dirReg
	.globl	fft_rtc_back_len169_factors_13_13_wgs_156_tpt_13_half_ip_CI_sbcc_twdbase8_3step_dirReg
	.p2align	8
	.type	fft_rtc_back_len169_factors_13_13_wgs_156_tpt_13_half_ip_CI_sbcc_twdbase8_3step_dirReg,@function
fft_rtc_back_len169_factors_13_13_wgs_156_tpt_13_half_ip_CI_sbcc_twdbase8_3step_dirReg: ; @fft_rtc_back_len169_factors_13_13_wgs_156_tpt_13_half_ip_CI_sbcc_twdbase8_3step_dirReg
; %bb.0:
	s_load_b128 s[12:15], s[0:1], 0x18
	s_mov_b32 s19, 0
	s_mov_b32 s2, 0x55540000
	s_movk_i32 s3, 0x55
	s_mov_b32 s18, s19
	s_mov_b64 s[26:27], 0
	s_add_nc_u64 s[4:5], s[18:19], s[2:3]
	s_delay_alu instid0(SALU_CYCLE_1) | instskip(NEXT) | instid1(SALU_CYCLE_1)
	s_add_co_i32 s5, s5, 0x15555500
	s_mul_u64 s[6:7], s[4:5], -12
	s_delay_alu instid0(SALU_CYCLE_1)
	s_mul_hi_u32 s9, s4, s7
	s_mul_i32 s8, s4, s7
	s_mul_hi_u32 s18, s4, s6
	s_mul_i32 s11, s5, s6
	s_add_nc_u64 s[8:9], s[18:19], s[8:9]
	s_mul_hi_u32 s10, s5, s6
	s_mul_hi_u32 s16, s5, s7
	s_mul_i32 s6, s5, s7
	s_wait_kmcnt 0x0
	s_load_b64 s[2:3], s[12:13], 0x8
	s_add_co_u32 s7, s8, s11
	s_add_co_ci_u32 s18, s9, s10
	s_add_co_ci_u32 s7, s16, 0
	s_delay_alu instid0(SALU_CYCLE_1) | instskip(NEXT) | instid1(SALU_CYCLE_1)
	s_add_nc_u64 s[6:7], s[18:19], s[6:7]
	v_add_co_u32 v1, s4, s4, s6
	s_delay_alu instid0(VALU_DEP_1) | instskip(SKIP_1) | instid1(VALU_DEP_1)
	s_cmp_lg_u32 s4, 0
	s_add_co_ci_u32 s8, s5, s7
	v_readfirstlane_b32 s9, v1
	s_wait_kmcnt 0x0
	s_add_nc_u64 s[4:5], s[2:3], -1
	s_wait_alu 0xfffe
	s_mul_hi_u32 s7, s4, s8
	s_mul_i32 s6, s4, s8
	s_mul_hi_u32 s18, s4, s9
	s_mul_hi_u32 s11, s5, s9
	s_mul_i32 s9, s5, s9
	s_wait_alu 0xfffe
	s_add_nc_u64 s[6:7], s[18:19], s[6:7]
	s_mul_hi_u32 s10, s5, s8
	s_wait_alu 0xfffe
	s_add_co_u32 s6, s6, s9
	s_add_co_ci_u32 s18, s7, s11
	s_mul_i32 s8, s5, s8
	s_add_co_ci_u32 s9, s10, 0
	s_delay_alu instid0(SALU_CYCLE_1) | instskip(SKIP_3) | instid1(SALU_CYCLE_1)
	s_add_nc_u64 s[6:7], s[18:19], s[8:9]
	s_mov_b32 s18, ttmp9
	s_wait_alu 0xfffe
	s_mul_u64 s[8:9], s[6:7], 12
	v_sub_co_u32 v1, s4, s4, s8
	s_delay_alu instid0(VALU_DEP_1) | instskip(SKIP_1) | instid1(VALU_DEP_1)
	s_cmp_lg_u32 s4, 0
	s_sub_co_ci_u32 s10, s5, s9
	v_sub_co_u32 v2, s8, v1, 12
	s_delay_alu instid0(VALU_DEP_1) | instskip(SKIP_2) | instid1(VALU_DEP_2)
	s_cmp_lg_u32 s8, 0
	v_readfirstlane_b32 s16, v1
	s_sub_co_ci_u32 s8, s10, 0
	v_readfirstlane_b32 s4, v2
	s_delay_alu instid0(VALU_DEP_1)
	s_cmp_gt_u32 s4, 11
	s_add_nc_u64 s[4:5], s[6:7], 1
	s_cselect_b32 s11, -1, 0
	s_wait_alu 0xfffe
	s_cmp_eq_u32 s8, 0
	s_add_nc_u64 s[8:9], s[6:7], 2
	s_cselect_b32 s11, s11, -1
	s_delay_alu instid0(SALU_CYCLE_1)
	s_cmp_lg_u32 s11, 0
	s_wait_alu 0xfffe
	s_cselect_b32 s4, s8, s4
	s_cselect_b32 s5, s9, s5
	s_cmp_gt_u32 s16, 11
	s_cselect_b32 s8, -1, 0
	s_cmp_eq_u32 s10, 0
	s_wait_alu 0xfffe
	s_cselect_b32 s8, s8, -1
	s_wait_alu 0xfffe
	s_cmp_lg_u32 s8, 0
	s_cselect_b32 s5, s5, s7
	s_cselect_b32 s4, s4, s6
	s_wait_alu 0xfffe
	s_add_nc_u64 s[20:21], s[4:5], 1
	s_delay_alu instid0(SALU_CYCLE_1) | instskip(NEXT) | instid1(VALU_DEP_1)
	v_cmp_lt_u64_e64 s4, s[18:19], s[20:21]
	s_and_b32 vcc_lo, exec_lo, s4
	s_cbranch_vccnz .LBB0_2
; %bb.1:
	v_cvt_f32_u32_e32 v1, s20
	s_sub_co_i32 s5, 0, s20
	s_mov_b32 s27, s19
	s_delay_alu instid0(VALU_DEP_1) | instskip(NEXT) | instid1(TRANS32_DEP_1)
	v_rcp_iflag_f32_e32 v1, v1
	v_mul_f32_e32 v1, 0x4f7ffffe, v1
	s_delay_alu instid0(VALU_DEP_1) | instskip(NEXT) | instid1(VALU_DEP_1)
	v_cvt_u32_f32_e32 v1, v1
	v_readfirstlane_b32 s4, v1
	s_wait_alu 0xfffe
	s_delay_alu instid0(VALU_DEP_1)
	s_mul_i32 s5, s5, s4
	s_wait_alu 0xfffe
	s_mul_hi_u32 s5, s4, s5
	s_wait_alu 0xfffe
	s_add_co_i32 s4, s4, s5
	s_wait_alu 0xfffe
	s_mul_hi_u32 s4, s18, s4
	s_wait_alu 0xfffe
	s_mul_i32 s5, s4, s20
	s_add_co_i32 s6, s4, 1
	s_wait_alu 0xfffe
	s_sub_co_i32 s5, s18, s5
	s_wait_alu 0xfffe
	s_sub_co_i32 s7, s5, s20
	s_cmp_ge_u32 s5, s20
	s_cselect_b32 s4, s6, s4
	s_wait_alu 0xfffe
	s_cselect_b32 s5, s7, s5
	s_add_co_i32 s6, s4, 1
	s_wait_alu 0xfffe
	s_cmp_ge_u32 s5, s20
	s_cselect_b32 s26, s6, s4
.LBB0_2:
	s_load_b128 s[8:11], s[0:1], 0x8
	s_load_b128 s[4:7], s[14:15], 0x0
	s_load_b64 s[16:17], s[0:1], 0x0
	s_mul_u64 s[22:23], s[26:27], s[20:21]
	s_delay_alu instid0(SALU_CYCLE_1) | instskip(NEXT) | instid1(SALU_CYCLE_1)
	s_sub_nc_u64 s[22:23], s[18:19], s[22:23]
	s_mul_u64 s[24:25], s[22:23], 12
	s_wait_kmcnt 0x0
	v_cmp_lt_u64_e64 s28, s[10:11], 3
	s_mul_u64 s[22:23], s[6:7], s[24:25]
	s_delay_alu instid0(VALU_DEP_1)
	s_and_b32 vcc_lo, exec_lo, s28
	s_cbranch_vccnz .LBB0_12
; %bb.3:
	s_add_nc_u64 s[28:29], s[14:15], 16
	s_add_nc_u64 s[12:13], s[12:13], 16
	s_mov_b64 s[30:31], 2
	s_mov_b32 s34, 0
.LBB0_4:                                ; =>This Inner Loop Header: Depth=1
	s_load_b64 s[36:37], s[12:13], 0x0
                                        ; implicit-def: $sgpr40_sgpr41
	s_wait_kmcnt 0x0
	s_or_b64 s[38:39], s[26:27], s[36:37]
	s_delay_alu instid0(SALU_CYCLE_1)
	s_mov_b32 s35, s39
	s_mov_b32 s39, -1
	s_cmp_lg_u64 s[34:35], 0
	s_cbranch_scc0 .LBB0_6
; %bb.5:                                ;   in Loop: Header=BB0_4 Depth=1
	s_cvt_f32_u32 s33, s36
	s_cvt_f32_u32 s35, s37
	s_sub_nc_u64 s[42:43], 0, s[36:37]
	s_mov_b32 s39, 0
	s_mov_b32 s47, s34
	s_wait_alu 0xfffe
	s_fmamk_f32 s33, s35, 0x4f800000, s33
	s_wait_alu 0xfffe
	s_delay_alu instid0(SALU_CYCLE_2) | instskip(NEXT) | instid1(TRANS32_DEP_1)
	v_s_rcp_f32 s33, s33
	s_mul_f32 s33, s33, 0x5f7ffffc
	s_wait_alu 0xfffe
	s_delay_alu instid0(SALU_CYCLE_2) | instskip(NEXT) | instid1(SALU_CYCLE_3)
	s_mul_f32 s35, s33, 0x2f800000
	s_trunc_f32 s35, s35
	s_delay_alu instid0(SALU_CYCLE_3) | instskip(SKIP_2) | instid1(SALU_CYCLE_1)
	s_fmamk_f32 s33, s35, 0xcf800000, s33
	s_cvt_u32_f32 s41, s35
	s_wait_alu 0xfffe
	s_cvt_u32_f32 s40, s33
	s_wait_alu 0xfffe
	s_delay_alu instid0(SALU_CYCLE_2)
	s_mul_u64 s[44:45], s[42:43], s[40:41]
	s_wait_alu 0xfffe
	s_mul_hi_u32 s49, s40, s45
	s_mul_i32 s48, s40, s45
	s_mul_hi_u32 s38, s40, s44
	s_mul_i32 s35, s41, s44
	s_add_nc_u64 s[48:49], s[38:39], s[48:49]
	s_mul_hi_u32 s33, s41, s44
	s_mul_hi_u32 s50, s41, s45
	s_add_co_u32 s35, s48, s35
	s_wait_alu 0xfffe
	s_add_co_ci_u32 s46, s49, s33
	s_mul_i32 s44, s41, s45
	s_add_co_ci_u32 s45, s50, 0
	s_wait_alu 0xfffe
	s_add_nc_u64 s[44:45], s[46:47], s[44:45]
	s_wait_alu 0xfffe
	v_add_co_u32 v1, s33, s40, s44
	s_delay_alu instid0(VALU_DEP_1) | instskip(SKIP_1) | instid1(VALU_DEP_1)
	s_cmp_lg_u32 s33, 0
	s_add_co_ci_u32 s41, s41, s45
	v_readfirstlane_b32 s40, v1
	s_mov_b32 s45, s34
	s_wait_alu 0xfffe
	s_delay_alu instid0(VALU_DEP_1)
	s_mul_u64 s[42:43], s[42:43], s[40:41]
	s_wait_alu 0xfffe
	s_mul_hi_u32 s47, s40, s43
	s_mul_i32 s46, s40, s43
	s_mul_hi_u32 s38, s40, s42
	s_mul_i32 s35, s41, s42
	s_add_nc_u64 s[46:47], s[38:39], s[46:47]
	s_mul_hi_u32 s33, s41, s42
	s_mul_hi_u32 s40, s41, s43
	s_add_co_u32 s35, s46, s35
	s_wait_alu 0xfffe
	s_add_co_ci_u32 s44, s47, s33
	s_mul_i32 s42, s41, s43
	s_add_co_ci_u32 s43, s40, 0
	s_wait_alu 0xfffe
	s_add_nc_u64 s[42:43], s[44:45], s[42:43]
	s_wait_alu 0xfffe
	v_add_co_u32 v1, s33, v1, s42
	s_delay_alu instid0(VALU_DEP_1) | instskip(SKIP_1) | instid1(VALU_DEP_1)
	s_cmp_lg_u32 s33, 0
	s_add_co_ci_u32 s33, s41, s43
	v_readfirstlane_b32 s35, v1
	s_wait_alu 0xfffe
	s_mul_hi_u32 s41, s26, s33
	s_mul_i32 s40, s26, s33
	s_mul_hi_u32 s43, s27, s33
	s_mul_i32 s42, s27, s33
	;; [unrolled: 2-line block ×3, first 2 shown]
	s_wait_alu 0xfffe
	s_add_nc_u64 s[40:41], s[38:39], s[40:41]
	s_mul_hi_u32 s35, s27, s35
	s_wait_alu 0xfffe
	s_add_co_u32 s33, s40, s33
	s_add_co_ci_u32 s44, s41, s35
	s_add_co_ci_u32 s43, s43, 0
	s_wait_alu 0xfffe
	s_add_nc_u64 s[40:41], s[44:45], s[42:43]
	s_wait_alu 0xfffe
	s_mul_u64 s[42:43], s[36:37], s[40:41]
	s_add_nc_u64 s[44:45], s[40:41], 1
	s_wait_alu 0xfffe
	v_sub_co_u32 v1, s33, s26, s42
	s_sub_co_i32 s35, s27, s43
	s_cmp_lg_u32 s33, 0
	s_add_nc_u64 s[46:47], s[40:41], 2
	s_delay_alu instid0(VALU_DEP_1) | instskip(SKIP_2) | instid1(VALU_DEP_1)
	v_sub_co_u32 v2, s38, v1, s36
	s_sub_co_ci_u32 s35, s35, s37
	s_cmp_lg_u32 s38, 0
	v_readfirstlane_b32 s38, v2
	s_sub_co_ci_u32 s35, s35, 0
	s_delay_alu instid0(SALU_CYCLE_1) | instskip(SKIP_1) | instid1(VALU_DEP_1)
	s_cmp_ge_u32 s35, s37
	s_cselect_b32 s42, -1, 0
	s_cmp_ge_u32 s38, s36
	s_cselect_b32 s38, -1, 0
	s_cmp_eq_u32 s35, s37
	s_wait_alu 0xfffe
	s_cselect_b32 s35, s38, s42
	s_delay_alu instid0(SALU_CYCLE_1)
	s_cmp_lg_u32 s35, 0
	s_cselect_b32 s35, s46, s44
	s_cselect_b32 s38, s47, s45
	s_cmp_lg_u32 s33, 0
	v_readfirstlane_b32 s33, v1
	s_sub_co_ci_u32 s42, s27, s43
	s_wait_alu 0xfffe
	s_cmp_ge_u32 s42, s37
	s_cselect_b32 s43, -1, 0
	s_cmp_ge_u32 s33, s36
	s_cselect_b32 s33, -1, 0
	s_cmp_eq_u32 s42, s37
	s_wait_alu 0xfffe
	s_cselect_b32 s33, s33, s43
	s_wait_alu 0xfffe
	s_cmp_lg_u32 s33, 0
	s_cselect_b32 s41, s38, s41
	s_cselect_b32 s40, s35, s40
.LBB0_6:                                ;   in Loop: Header=BB0_4 Depth=1
	s_and_not1_b32 vcc_lo, exec_lo, s39
	s_cbranch_vccnz .LBB0_8
; %bb.7:                                ;   in Loop: Header=BB0_4 Depth=1
	v_cvt_f32_u32_e32 v1, s36
	s_sub_co_i32 s35, 0, s36
	s_mov_b32 s41, s34
	s_delay_alu instid0(VALU_DEP_1) | instskip(NEXT) | instid1(TRANS32_DEP_1)
	v_rcp_iflag_f32_e32 v1, v1
	v_mul_f32_e32 v1, 0x4f7ffffe, v1
	s_delay_alu instid0(VALU_DEP_1) | instskip(NEXT) | instid1(VALU_DEP_1)
	v_cvt_u32_f32_e32 v1, v1
	v_readfirstlane_b32 s33, v1
	s_delay_alu instid0(VALU_DEP_1) | instskip(NEXT) | instid1(SALU_CYCLE_1)
	s_mul_i32 s35, s35, s33
	s_mul_hi_u32 s35, s33, s35
	s_delay_alu instid0(SALU_CYCLE_1)
	s_add_co_i32 s33, s33, s35
	s_wait_alu 0xfffe
	s_mul_hi_u32 s33, s26, s33
	s_wait_alu 0xfffe
	s_mul_i32 s35, s33, s36
	s_add_co_i32 s38, s33, 1
	s_sub_co_i32 s35, s26, s35
	s_delay_alu instid0(SALU_CYCLE_1)
	s_sub_co_i32 s39, s35, s36
	s_cmp_ge_u32 s35, s36
	s_cselect_b32 s33, s38, s33
	s_cselect_b32 s35, s39, s35
	s_wait_alu 0xfffe
	s_add_co_i32 s38, s33, 1
	s_cmp_ge_u32 s35, s36
	s_cselect_b32 s40, s38, s33
.LBB0_8:                                ;   in Loop: Header=BB0_4 Depth=1
	s_load_b64 s[38:39], s[28:29], 0x0
	s_add_nc_u64 s[30:31], s[30:31], 1
	s_mul_u64 s[20:21], s[36:37], s[20:21]
	s_wait_alu 0xfffe
	v_cmp_ge_u64_e64 s33, s[30:31], s[10:11]
	s_mul_u64 s[36:37], s[40:41], s[36:37]
	s_add_nc_u64 s[28:29], s[28:29], 8
	s_wait_alu 0xfffe
	s_sub_nc_u64 s[26:27], s[26:27], s[36:37]
	s_add_nc_u64 s[12:13], s[12:13], 8
	s_and_b32 vcc_lo, exec_lo, s33
	s_wait_kmcnt 0x0
	s_wait_alu 0xfffe
	s_mul_u64 s[26:27], s[38:39], s[26:27]
	s_wait_alu 0xfffe
	s_add_nc_u64 s[22:23], s[26:27], s[22:23]
	s_cbranch_vccnz .LBB0_10
; %bb.9:                                ;   in Loop: Header=BB0_4 Depth=1
	s_mov_b64 s[26:27], s[40:41]
	s_branch .LBB0_4
.LBB0_10:
	v_cmp_lt_u64_e64 s12, s[18:19], s[20:21]
	s_mov_b64 s[26:27], 0
	s_delay_alu instid0(VALU_DEP_1)
	s_and_b32 vcc_lo, exec_lo, s12
	s_cbranch_vccnz .LBB0_12
; %bb.11:
	v_cvt_f32_u32_e32 v1, s20
	s_sub_co_i32 s13, 0, s20
	s_mov_b32 s27, 0
	s_delay_alu instid0(VALU_DEP_1) | instskip(NEXT) | instid1(TRANS32_DEP_1)
	v_rcp_iflag_f32_e32 v1, v1
	v_mul_f32_e32 v1, 0x4f7ffffe, v1
	s_delay_alu instid0(VALU_DEP_1) | instskip(NEXT) | instid1(VALU_DEP_1)
	v_cvt_u32_f32_e32 v1, v1
	v_readfirstlane_b32 s12, v1
	s_delay_alu instid0(VALU_DEP_1) | instskip(NEXT) | instid1(SALU_CYCLE_1)
	s_mul_i32 s13, s13, s12
	s_mul_hi_u32 s13, s12, s13
	s_delay_alu instid0(SALU_CYCLE_1) | instskip(NEXT) | instid1(SALU_CYCLE_1)
	s_add_co_i32 s12, s12, s13
	s_mul_hi_u32 s12, s18, s12
	s_delay_alu instid0(SALU_CYCLE_1) | instskip(NEXT) | instid1(SALU_CYCLE_1)
	s_mul_i32 s13, s12, s20
	s_sub_co_i32 s13, s18, s13
	s_add_co_i32 s18, s12, 1
	s_sub_co_i32 s19, s13, s20
	s_cmp_ge_u32 s13, s20
	s_wait_alu 0xfffe
	s_cselect_b32 s12, s18, s12
	s_cselect_b32 s13, s19, s13
	s_add_co_i32 s18, s12, 1
	s_cmp_ge_u32 s13, s20
	s_wait_alu 0xfffe
	s_cselect_b32 s26, s18, s12
.LBB0_12:
	v_mul_u32_u24_e32 v1, 0x1556, v0
	s_lshl_b64 s[10:11], s[10:11], 3
	s_load_b64 s[0:1], s[0:1], 0x58
	s_add_nc_u64 s[10:11], s[14:15], s[10:11]
                                        ; implicit-def: $vgpr22
                                        ; implicit-def: $vgpr20
                                        ; implicit-def: $vgpr29
                                        ; implicit-def: $vgpr27
                                        ; implicit-def: $vgpr24
                                        ; implicit-def: $vgpr21
                                        ; implicit-def: $vgpr18
                                        ; implicit-def: $vgpr16
                                        ; implicit-def: $vgpr12
                                        ; implicit-def: $vgpr10
                                        ; implicit-def: $vgpr8
                                        ; implicit-def: $vgpr5
                                        ; implicit-def: $vgpr3
                                        ; implicit-def: $vgpr28
                                        ; implicit-def: $vgpr6
                                        ; implicit-def: $vgpr25
                                        ; implicit-def: $vgpr23
                                        ; implicit-def: $vgpr19
                                        ; implicit-def: $vgpr17
                                        ; implicit-def: $vgpr11
                                        ; implicit-def: $vgpr9
                                        ; implicit-def: $vgpr7
                                        ; implicit-def: $vgpr4
                                        ; implicit-def: $vgpr2
	s_load_b64 s[10:11], s[10:11], 0x0
	v_lshrrev_b32_e32 v15, 16, v1
	s_delay_alu instid0(VALU_DEP_1) | instskip(NEXT) | instid1(VALU_DEP_1)
	v_mul_lo_u16 v1, v15, 12
	v_sub_nc_u16 v1, v0, v1
	s_delay_alu instid0(VALU_DEP_1) | instskip(NEXT) | instid1(VALU_DEP_1)
	v_and_b32_e32 v26, 0xffff, v1
                                        ; implicit-def: $vgpr1
	v_add_co_u32 v13, s12, s24, v26
	s_delay_alu instid0(VALU_DEP_1) | instskip(SKIP_3) | instid1(VALU_DEP_2)
	v_add_co_ci_u32_e64 v14, null, s25, 0, s12
	s_add_nc_u64 s[12:13], s[24:25], 12
	s_wait_alu 0xfffe
	v_cmp_le_u64_e64 s12, s[12:13], s[2:3]
	v_cmp_gt_u64_e32 vcc_lo, s[2:3], v[13:14]
	s_wait_kmcnt 0x0
	s_mul_u64 s[2:3], s[10:11], s[26:27]
                                        ; implicit-def: $vgpr14
	s_wait_alu 0xfffe
	s_add_nc_u64 s[2:3], s[2:3], s[22:23]
	s_or_b32 s10, s12, vcc_lo
	s_wait_alu 0xfffe
	s_and_saveexec_b32 s11, s10
	s_cbranch_execz .LBB0_14
; %bb.13:
	v_add_nc_u32_e32 v11, 13, v15
	v_mad_co_u64_u32 v[1:2], null, s6, v26, 0
	v_mad_co_u64_u32 v[3:4], null, s4, v15, 0
	s_delay_alu instid0(VALU_DEP_3)
	v_mad_co_u64_u32 v[5:6], null, s4, v11, 0
	v_add_nc_u32_e32 v12, 26, v15
	v_add_nc_u32_e32 v24, 0x4e, v15
	s_lshl_b64 s[12:13], s[2:3], 2
	v_add_nc_u32_e32 v16, 52, v15
	v_mad_co_u64_u32 v[7:8], null, s7, v26, v[2:3]
	v_mad_co_u64_u32 v[8:9], null, s5, v15, v[4:5]
	;; [unrolled: 1-line block ×3, first 2 shown]
	v_dual_mov_b32 v4, v6 :: v_dual_add_nc_u32 v25, 0x5b, v15
	s_delay_alu instid0(VALU_DEP_4) | instskip(SKIP_1) | instid1(VALU_DEP_3)
	v_mov_b32_e32 v2, v7
	v_mad_co_u64_u32 v[18:19], null, s4, v24, 0
	v_mad_co_u64_u32 v[6:7], null, s5, v11, v[4:5]
	v_mov_b32_e32 v4, v8
	s_delay_alu instid0(VALU_DEP_4)
	v_lshlrev_b64_e32 v[1:2], 2, v[1:2]
	v_dual_mov_b32 v7, v10 :: v_dual_add_nc_u32 v14, 39, v15
	s_wait_alu 0xfffe
	s_add_nc_u64 s[12:13], s[0:1], s[12:13]
	v_lshlrev_b64_e32 v[3:4], 2, v[3:4]
	v_lshlrev_b64_e32 v[5:6], 2, v[5:6]
	v_mad_co_u64_u32 v[7:8], null, s5, v12, v[7:8]
	s_wait_alu 0xfffe
	v_add_co_u32 v39, vcc_lo, s12, v1
	v_add_co_ci_u32_e32 v40, vcc_lo, s13, v2, vcc_lo
	v_mad_co_u64_u32 v[1:2], null, s4, v14, 0
	s_delay_alu instid0(VALU_DEP_3)
	v_add_co_u32 v3, vcc_lo, v39, v3
	v_mad_co_u64_u32 v[11:12], null, s4, v16, 0
	v_mov_b32_e32 v10, v7
	s_wait_alu 0xfffd
	v_add_co_ci_u32_e32 v4, vcc_lo, v40, v4, vcc_lo
	v_mad_co_u64_u32 v[7:8], null, s5, v14, v[2:3]
	s_delay_alu instid0(VALU_DEP_3)
	v_lshlrev_b64_e32 v[9:10], 2, v[9:10]
	v_mov_b32_e32 v8, v12
	v_add_nc_u32_e32 v14, 0x41, v15
	v_add_co_u32 v5, vcc_lo, v39, v5
	s_wait_alu 0xfffd
	v_add_co_ci_u32_e32 v6, vcc_lo, v40, v6, vcc_lo
	v_dual_mov_b32 v2, v7 :: v_dual_add_nc_u32 v27, 0x82, v15
	v_mad_co_u64_u32 v[7:8], null, s5, v16, v[8:9]
	v_mad_co_u64_u32 v[16:17], null, s4, v14, 0
	v_add_co_u32 v8, vcc_lo, v39, v9
	v_mad_co_u64_u32 v[20:21], null, s4, v25, 0
	s_delay_alu instid0(VALU_DEP_4)
	v_mov_b32_e32 v12, v7
	s_wait_alu 0xfffd
	v_add_co_ci_u32_e32 v9, vcc_lo, v40, v10, vcc_lo
	v_mov_b32_e32 v7, v17
	v_add_nc_u32_e32 v41, 0x9c, v15
	v_lshlrev_b64_e32 v[10:11], 2, v[11:12]
	v_mov_b32_e32 v12, v21
	v_lshlrev_b64_e32 v[1:2], 2, v[1:2]
	v_mad_co_u64_u32 v[22:23], null, s5, v14, v[7:8]
	v_dual_mov_b32 v7, v19 :: v_dual_add_nc_u32 v14, 0x75, v15
	v_mad_co_u64_u32 v[30:31], null, s4, v27, 0
	s_delay_alu instid0(VALU_DEP_4) | instskip(NEXT) | instid1(VALU_DEP_4)
	v_add_co_u32 v1, vcc_lo, v39, v1
	v_mov_b32_e32 v17, v22
	s_delay_alu instid0(VALU_DEP_4) | instskip(SKIP_2) | instid1(VALU_DEP_4)
	v_mad_co_u64_u32 v[21:22], null, s5, v24, v[7:8]
	v_mad_co_u64_u32 v[22:23], null, s5, v25, v[12:13]
	v_add_nc_u32_e32 v12, 0x68, v15
	v_lshlrev_b64_e32 v[16:17], 2, v[16:17]
	s_wait_alu 0xfffd
	v_add_co_ci_u32_e32 v2, vcc_lo, v40, v2, vcc_lo
	v_mov_b32_e32 v19, v21
	v_add_co_u32 v10, vcc_lo, v39, v10
	v_mov_b32_e32 v21, v22
	v_mad_co_u64_u32 v[22:23], null, s4, v12, 0
	s_wait_alu 0xfffd
	v_add_co_ci_u32_e32 v11, vcc_lo, v40, v11, vcc_lo
	v_add_co_u32 v24, vcc_lo, v39, v16
	v_mad_co_u64_u32 v[28:29], null, s4, v14, 0
	s_delay_alu instid0(VALU_DEP_4)
	v_mov_b32_e32 v7, v23
	s_wait_alu 0xfffd
	v_add_co_ci_u32_e32 v25, vcc_lo, v40, v17, vcc_lo
	v_lshlrev_b64_e32 v[16:17], 2, v[18:19]
	v_lshlrev_b64_e32 v[18:19], 2, v[20:21]
	v_mad_co_u64_u32 v[20:21], null, s5, v12, v[7:8]
	v_dual_mov_b32 v7, v29 :: v_dual_mov_b32 v12, v31
	s_delay_alu instid0(VALU_DEP_4)
	v_add_co_u32 v32, vcc_lo, v39, v16
	s_wait_alu 0xfffd
	v_add_co_ci_u32_e32 v33, vcc_lo, v40, v17, vcc_lo
	v_add_co_u32 v17, vcc_lo, v39, v18
	s_wait_alu 0xfffd
	v_add_co_ci_u32_e32 v18, vcc_lo, v40, v19, vcc_lo
	v_mov_b32_e32 v23, v20
	v_mad_co_u64_u32 v[19:20], null, s5, v14, v[7:8]
	v_mad_co_u64_u32 v[34:35], null, s5, v27, v[12:13]
	s_clause 0x7
	global_load_b32 v20, v[3:4], off
	global_load_b32 v27, v[5:6], off
	;; [unrolled: 1-line block ×8, first 2 shown]
	v_add_nc_u32_e32 v14, 0x8f, v15
	v_mad_co_u64_u32 v[37:38], null, s4, v41, 0
	v_mov_b32_e32 v29, v19
	v_lshlrev_b64_e32 v[6:7], 2, v[22:23]
	v_mov_b32_e32 v31, v34
	v_mad_co_u64_u32 v[35:36], null, s4, v14, 0
	s_delay_alu instid0(VALU_DEP_4) | instskip(NEXT) | instid1(VALU_DEP_4)
	v_lshlrev_b64_e32 v[8:9], 2, v[28:29]
	v_add_co_u32 v6, vcc_lo, v39, v6
	s_wait_alu 0xfffd
	v_add_co_ci_u32_e32 v7, vcc_lo, v40, v7, vcc_lo
	s_delay_alu instid0(VALU_DEP_4) | instskip(SKIP_1) | instid1(VALU_DEP_2)
	v_mov_b32_e32 v3, v36
	v_lshlrev_b64_e32 v[17:18], 2, v[30:31]
	v_mad_co_u64_u32 v[3:4], null, s5, v14, v[3:4]
	v_mov_b32_e32 v4, v38
	s_delay_alu instid0(VALU_DEP_2)
	v_mov_b32_e32 v36, v3
	v_add_co_u32 v3, vcc_lo, v39, v8
	s_wait_loadcnt 0x7
	v_lshrrev_b32_e32 v22, 16, v20
	s_wait_loadcnt 0x6
	v_lshrrev_b32_e32 v29, 16, v27
	s_wait_loadcnt 0x2
	v_mad_co_u64_u32 v[11:12], null, s5, v41, v[4:5]
	s_wait_alu 0xfffd
	v_add_co_ci_u32_e32 v4, vcc_lo, v40, v9, vcc_lo
	v_lshlrev_b64_e32 v[8:9], 2, v[35:36]
	v_add_co_u32 v17, vcc_lo, v39, v17
	s_wait_alu 0xfffd
	v_add_co_ci_u32_e32 v18, vcc_lo, v40, v18, vcc_lo
	v_mov_b32_e32 v38, v11
	s_delay_alu instid0(VALU_DEP_4) | instskip(SKIP_2) | instid1(VALU_DEP_3)
	v_add_co_u32 v8, vcc_lo, v39, v8
	s_wait_alu 0xfffd
	v_add_co_ci_u32_e32 v9, vcc_lo, v40, v9, vcc_lo
	v_lshlrev_b64_e32 v[11:12], 2, v[37:38]
	s_delay_alu instid0(VALU_DEP_1) | instskip(SKIP_1) | instid1(VALU_DEP_2)
	v_add_co_u32 v24, vcc_lo, v39, v11
	s_wait_alu 0xfffd
	v_add_co_ci_u32_e32 v25, vcc_lo, v40, v12, vcc_lo
	s_clause 0x4
	global_load_b32 v7, v[6:7], off
	global_load_b32 v11, v[3:4], off
	;; [unrolled: 1-line block ×5, first 2 shown]
	v_lshrrev_b32_e32 v24, 16, v21
	v_lshrrev_b32_e32 v18, 16, v16
	;; [unrolled: 1-line block ×4, first 2 shown]
	s_wait_loadcnt 0x6
	v_lshrrev_b32_e32 v3, 16, v1
	s_wait_loadcnt 0x5
	v_lshrrev_b32_e32 v4, 16, v2
	s_wait_loadcnt 0x4
	v_lshrrev_b32_e32 v9, 16, v7
	s_wait_loadcnt 0x3
	v_lshrrev_b32_e32 v14, 16, v11
	s_wait_loadcnt 0x2
	v_lshrrev_b32_e32 v19, 16, v17
	s_wait_loadcnt 0x1
	v_lshrrev_b32_e32 v25, 16, v23
	s_wait_loadcnt 0x0
	v_lshrrev_b32_e32 v28, 16, v6
.LBB0_14:
	s_wait_alu 0xfffe
	s_or_b32 exec_lo, exec_lo, s11
	v_add_f16_e32 v30, v22, v29
	v_add_f16_e32 v31, v20, v27
	;; [unrolled: 1-line block ×3, first 2 shown]
	v_sub_f16_e32 v27, v27, v6
	v_sub_f16_e32 v33, v29, v28
	v_add_f16_e32 v30, v30, v24
	v_add_f16_e32 v31, v31, v21
	;; [unrolled: 1-line block ×3, first 2 shown]
	v_mul_f16_e32 v37, 0xba95, v27
	v_mul_f16_e32 v39, 0xbbf1, v27
	v_add_f16_e32 v30, v30, v18
	v_add_f16_e32 v31, v31, v16
	v_mul_f16_e32 v34, 0xb770, v33
	v_mul_f16_e32 v36, 0xba95, v33
	;; [unrolled: 1-line block ×3, first 2 shown]
	v_add_f16_e32 v30, v30, v12
	v_add_f16_e32 v31, v31, v10
	v_mul_f16_e32 v40, 0xbb7b, v33
	v_mul_f16_e32 v41, 0xbb7b, v27
	v_fma_f16 v45, v29, 0x388b, -v37
	v_add_f16_e32 v30, v30, v8
	v_add_f16_e32 v31, v31, v5
	v_fmac_f16_e32 v37, 0x388b, v29
	v_fma_f16 v47, v29, 0x2fb7, -v39
	v_sub_f16_e32 v52, v24, v25
	v_add_f16_e32 v30, v30, v3
	v_add_f16_e32 v31, v31, v1
	v_mul_f16_e32 v35, 0xb770, v27
	v_fmamk_f16 v42, v32, 0x3b15, v34
	v_fmamk_f16 v44, v32, 0x388b, v36
	v_add_f16_e32 v30, v30, v4
	v_add_f16_e32 v31, v31, v2
	v_fma_f16 v36, v32, 0x388b, -v36
	v_fmamk_f16 v46, v32, 0x2fb7, v38
	v_fmamk_f16 v48, v32, 0xb5ac, v40
	v_add_f16_e32 v30, v9, v30
	v_add_f16_e32 v31, v7, v31
	v_fma_f16 v49, v29, 0xb5ac, -v41
	v_add_f16_e32 v54, v21, v23
	v_mul_f16_e32 v55, 0xba95, v52
	v_add_f16_e32 v30, v14, v30
	v_add_f16_e32 v31, v11, v31
	v_sub_f16_e32 v21, v21, v23
	v_fma_f16 v43, v29, 0x3b15, -v35
	v_fma_f16 v34, v32, 0x3b15, -v34
	v_add_f16_e32 v30, v19, v30
	v_add_f16_e32 v31, v17, v31
	v_fmac_f16_e32 v35, 0x3b15, v29
	v_fma_f16 v38, v32, 0x2fb7, -v38
	v_fmac_f16_e32 v39, 0x2fb7, v29
	v_add_f16_e32 v30, v25, v30
	v_add_f16_e32 v31, v23, v31
	v_add_f16_e32 v42, v20, v42
	v_fma_f16 v40, v32, 0xb5ac, -v40
	v_fmac_f16_e32 v41, 0xb5ac, v29
	v_add_f16_e32 v28, v28, v30
	v_add_f16_e32 v6, v6, v31
	;; [unrolled: 1-line block ×4, first 2 shown]
	v_mul_f16_e32 v47, 0xb94e, v27
	v_lshlrev_b32_e32 v28, 16, v28
	v_and_b32_e32 v6, 0xffff, v6
	v_mul_f16_e32 v27, 0xb3a8, v27
	v_add_f16_e32 v30, v20, v36
	v_add_f16_e32 v36, v20, v46
	;; [unrolled: 1-line block ×3, first 2 shown]
	v_or_b32_e32 v6, v28, v6
	v_mul_f16_e32 v28, 0xb94e, v33
	v_mul_f16_e32 v33, 0xb3a8, v33
	v_add_f16_e32 v48, v22, v49
	v_fma_f16 v50, v29, 0xb9fd, -v47
	v_fmac_f16_e32 v47, 0xb9fd, v29
	v_fmamk_f16 v49, v32, 0xb9fd, v28
	v_fma_f16 v28, v32, 0xb9fd, -v28
	v_fmamk_f16 v51, v32, 0xbbc4, v33
	v_fma_f16 v53, v29, 0xbbc4, -v27
	v_fma_f16 v23, v32, 0xbbc4, -v33
	v_fmac_f16_e32 v27, 0xbbc4, v29
	v_add_f16_e32 v24, v24, v25
	v_fmamk_f16 v25, v54, 0x388b, v55
	v_mul_f16_e32 v29, 0xba95, v21
	v_add_f16_e32 v43, v22, v43
	v_add_f16_e32 v34, v20, v34
	;; [unrolled: 1-line block ×18, first 2 shown]
	v_fma_f16 v25, v24, 0x388b, -v29
	v_mul_f16_e32 v27, 0xbb7b, v52
	v_fma_f16 v33, v54, 0x388b, -v55
	v_fmac_f16_e32 v29, 0x388b, v24
	v_mul_f16_e32 v42, 0xbb7b, v21
	v_add_f16_e32 v25, v43, v25
	v_fmamk_f16 v43, v54, 0xb5ac, v27
	v_add_f16_e32 v33, v34, v33
	v_add_f16_e32 v29, v35, v29
	v_fma_f16 v34, v24, 0xb5ac, -v42
	v_mul_f16_e32 v35, 0xb3a8, v52
	v_fma_f16 v27, v54, 0xb5ac, -v27
	v_fmac_f16_e32 v42, 0xb5ac, v24
	v_add_f16_e32 v43, v44, v43
	v_add_f16_e32 v34, v45, v34
	v_fmamk_f16 v44, v54, 0xbbc4, v35
	v_mul_f16_e32 v45, 0xb3a8, v21
	v_add_f16_e32 v27, v30, v27
	v_add_f16_e32 v30, v31, v42
	v_mul_f16_e32 v31, 0x394e, v52
	v_add_f16_e32 v36, v36, v44
	v_fma_f16 v42, v24, 0xbbc4, -v45
	v_fma_f16 v35, v54, 0xbbc4, -v35
	v_fmac_f16_e32 v45, 0xbbc4, v24
	v_fmamk_f16 v44, v54, 0xb9fd, v31
	v_mul_f16_e32 v53, 0x394e, v21
	v_add_f16_e32 v37, v37, v42
	v_add_f16_e32 v35, v38, v35
	;; [unrolled: 1-line block ×4, first 2 shown]
	v_fma_f16 v42, v24, 0xb9fd, -v53
	v_mul_f16_e32 v44, 0x3bf1, v52
	v_fma_f16 v31, v54, 0xb9fd, -v31
	v_mul_f16_e32 v45, 0x3bf1, v21
	v_mul_f16_e32 v21, 0x3770, v21
	v_add_f16_e32 v42, v48, v42
	v_fmamk_f16 v46, v54, 0x2fb7, v44
	v_mul_f16_e32 v48, 0x3770, v52
	v_fma_f16 v44, v54, 0x2fb7, -v44
	v_add_f16_e32 v31, v40, v31
	v_fma_f16 v40, v24, 0x2fb7, -v45
	v_add_f16_e32 v46, v49, v46
	v_fmac_f16_e32 v45, 0x2fb7, v24
	v_fmamk_f16 v49, v54, 0x3b15, v48
	v_add_f16_e32 v28, v28, v44
	v_sub_f16_e32 v44, v18, v19
	v_add_f16_e32 v40, v50, v40
	v_add_f16_e32 v45, v47, v45
	;; [unrolled: 1-line block ×4, first 2 shown]
	v_mul_f16_e32 v51, 0xbbf1, v44
	v_sub_f16_e32 v16, v16, v17
	v_fmac_f16_e32 v53, 0xb9fd, v24
	v_fma_f16 v49, v24, 0x3b15, -v21
	v_fma_f16 v17, v54, 0x3b15, -v48
	v_fmac_f16_e32 v21, 0x3b15, v24
	v_add_f16_e32 v18, v18, v19
	v_fmamk_f16 v19, v50, 0x2fb7, v51
	v_mul_f16_e32 v24, 0xbbf1, v16
	v_add_f16_e32 v17, v20, v17
	v_add_f16_e32 v20, v22, v21
	v_mul_f16_e32 v22, 0xb3a8, v44
	v_add_f16_e32 v19, v23, v19
	v_fma_f16 v21, v18, 0x2fb7, -v24
	v_fma_f16 v23, v50, 0x2fb7, -v51
	v_fmac_f16_e32 v24, 0x2fb7, v18
	v_mul_f16_e32 v48, 0xb3a8, v16
	v_add_f16_e32 v32, v32, v49
	v_add_f16_e32 v21, v25, v21
	v_fmamk_f16 v25, v50, 0xbbc4, v22
	v_add_f16_e32 v23, v33, v23
	v_add_f16_e32 v24, v29, v24
	v_fma_f16 v29, v18, 0xbbc4, -v48
	v_mul_f16_e32 v33, 0x3b7b, v44
	v_fma_f16 v22, v50, 0xbbc4, -v22
	v_fmac_f16_e32 v48, 0xbbc4, v18
	v_add_f16_e32 v25, v43, v25
	v_add_f16_e32 v29, v34, v29
	v_fmamk_f16 v34, v50, 0xb5ac, v33
	v_mul_f16_e32 v43, 0x3b7b, v16
	v_add_f16_e32 v22, v27, v22
	v_add_f16_e32 v27, v30, v48
	v_mul_f16_e32 v30, 0x3770, v44
	v_add_f16_e32 v34, v36, v34
	v_fma_f16 v36, v18, 0xb5ac, -v43
	v_fma_f16 v33, v50, 0xb5ac, -v33
	v_fmac_f16_e32 v43, 0xb5ac, v18
	v_fmamk_f16 v48, v50, 0x3b15, v30
	v_mul_f16_e32 v49, 0x3770, v16
	v_add_f16_e32 v36, v37, v36
	v_add_f16_e32 v33, v35, v33
	;; [unrolled: 1-line block ×4, first 2 shown]
	v_fma_f16 v38, v18, 0x3b15, -v49
	v_mul_f16_e32 v39, 0xba95, v44
	v_fma_f16 v30, v50, 0x3b15, -v30
	v_mul_f16_e32 v43, 0xba95, v16
	v_mul_f16_e32 v44, 0xb94e, v44
	v_add_f16_e32 v38, v42, v38
	v_fmamk_f16 v42, v50, 0x388b, v39
	v_add_f16_e32 v30, v31, v30
	v_fma_f16 v31, v18, 0x388b, -v43
	v_fma_f16 v39, v50, 0x388b, -v39
	v_fmac_f16_e32 v43, 0x388b, v18
	v_add_f16_e32 v42, v46, v42
	v_mul_f16_e32 v16, 0xb94e, v16
	v_add_f16_e32 v31, v40, v31
	v_fmamk_f16 v40, v50, 0xb9fd, v44
	v_add_f16_e32 v28, v28, v39
	v_sub_f16_e32 v39, v12, v14
	v_add_f16_e32 v46, v10, v11
	v_sub_f16_e32 v10, v10, v11
	v_add_f16_e32 v40, v47, v40
	v_fmac_f16_e32 v49, 0x3b15, v18
	v_mul_f16_e32 v47, 0xbb7b, v39
	v_add_f16_e32 v43, v45, v43
	v_fma_f16 v45, v18, 0xb9fd, -v16
	v_fma_f16 v11, v50, 0xb9fd, -v44
	v_fmac_f16_e32 v16, 0xb9fd, v18
	v_add_f16_e32 v12, v12, v14
	v_fmamk_f16 v14, v46, 0xb5ac, v47
	v_mul_f16_e32 v18, 0xbb7b, v10
	v_add_f16_e32 v11, v17, v11
	v_add_f16_e32 v16, v20, v16
	v_fma_f16 v20, v46, 0xb5ac, -v47
	v_add_f16_e32 v14, v19, v14
	v_fma_f16 v17, v12, 0xb5ac, -v18
	v_mul_f16_e32 v19, 0x394e, v39
	v_fmac_f16_e32 v18, 0xb5ac, v12
	v_mul_f16_e32 v44, 0x394e, v10
	v_add_f16_e32 v20, v23, v20
	v_add_f16_e32 v17, v21, v17
	v_fmamk_f16 v21, v46, 0xb9fd, v19
	v_add_f16_e32 v18, v24, v18
	v_fma_f16 v23, v12, 0xb9fd, -v44
	v_mul_f16_e32 v24, 0x3770, v39
	v_fma_f16 v19, v46, 0xb9fd, -v19
	v_add_f16_e32 v21, v25, v21
	v_fmac_f16_e32 v44, 0xb9fd, v12
	v_add_f16_e32 v23, v29, v23
	v_fmamk_f16 v25, v46, 0x3b15, v24
	v_mul_f16_e32 v29, 0x3770, v10
	v_add_f16_e32 v32, v32, v45
	v_add_f16_e32 v19, v22, v19
	;; [unrolled: 1-line block ×3, first 2 shown]
	v_mul_f16_e32 v27, 0xbbf1, v39
	v_add_f16_e32 v25, v34, v25
	v_fma_f16 v34, v12, 0x3b15, -v29
	v_fmac_f16_e32 v29, 0x3b15, v12
	v_mul_f16_e32 v45, 0xbbf1, v10
	v_fma_f16 v24, v46, 0x3b15, -v24
	v_fmamk_f16 v44, v46, 0x2fb7, v27
	v_add_f16_e32 v34, v36, v34
	v_add_f16_e32 v29, v35, v29
	v_fma_f16 v35, v12, 0x2fb7, -v45
	v_mul_f16_e32 v36, 0x33a8, v39
	v_add_f16_e32 v24, v33, v24
	v_add_f16_e32 v33, v37, v44
	v_fma_f16 v27, v46, 0x2fb7, -v27
	v_mul_f16_e32 v37, 0x33a8, v10
	v_add_f16_e32 v35, v38, v35
	v_fmamk_f16 v38, v46, 0xbbc4, v36
	v_fma_f16 v36, v46, 0xbbc4, -v36
	v_add_f16_e32 v27, v30, v27
	v_fma_f16 v30, v12, 0xbbc4, -v37
	v_mul_f16_e32 v39, 0x3a95, v39
	v_fmac_f16_e32 v37, 0xbbc4, v12
	v_add_f16_e32 v28, v28, v36
	v_sub_f16_e32 v36, v8, v9
	v_add_f16_e32 v38, v42, v38
	v_add_f16_e32 v30, v31, v30
	v_fmamk_f16 v31, v46, 0x388b, v39
	v_mul_f16_e32 v10, 0x3a95, v10
	v_add_f16_e32 v37, v43, v37
	v_add_f16_e32 v42, v5, v7
	v_mul_f16_e32 v43, 0xb94e, v36
	v_sub_f16_e32 v5, v5, v7
	v_fmac_f16_e32 v45, 0x2fb7, v12
	v_add_f16_e32 v31, v40, v31
	v_fma_f16 v40, v12, 0x388b, -v10
	v_fma_f16 v7, v46, 0x388b, -v39
	v_fmac_f16_e32 v10, 0x388b, v12
	v_add_f16_e32 v8, v8, v9
	v_fmamk_f16 v9, v42, 0xb9fd, v43
	v_mul_f16_e32 v12, 0xb94e, v5
	v_add_f16_e32 v7, v11, v7
	v_add_f16_e32 v10, v16, v10
	v_fma_f16 v16, v42, 0xb9fd, -v43
	v_add_f16_e32 v9, v14, v9
	v_fma_f16 v11, v8, 0xb9fd, -v12
	v_mul_f16_e32 v14, 0x3bf1, v36
	v_fmac_f16_e32 v12, 0xb9fd, v8
	v_mul_f16_e32 v39, 0x3bf1, v5
	v_add_f16_e32 v16, v20, v16
	v_add_f16_e32 v11, v17, v11
	v_fmamk_f16 v17, v42, 0x2fb7, v14
	v_add_f16_e32 v12, v18, v12
	v_fma_f16 v18, v8, 0x2fb7, -v39
	v_mul_f16_e32 v20, 0xba95, v36
	v_fma_f16 v14, v42, 0x2fb7, -v14
	v_fmac_f16_e32 v39, 0x2fb7, v8
	v_add_f16_e32 v17, v21, v17
	v_add_f16_e32 v18, v23, v18
	v_fmamk_f16 v21, v42, 0x388b, v20
	v_mul_f16_e32 v23, 0xba95, v5
	v_add_f16_e32 v14, v19, v14
	v_add_f16_e32 v19, v22, v39
	v_mul_f16_e32 v22, 0x33a8, v36
	v_add_f16_e32 v32, v32, v40
	v_add_f16_e32 v21, v25, v21
	v_fma_f16 v25, v8, 0x388b, -v23
	v_fma_f16 v20, v42, 0x388b, -v20
	v_fmac_f16_e32 v23, 0x388b, v8
	v_fmamk_f16 v39, v42, 0xbbc4, v22
	v_mul_f16_e32 v40, 0x33a8, v5
	v_add_f16_e32 v25, v34, v25
	v_add_f16_e32 v20, v24, v20
	;; [unrolled: 1-line block ×4, first 2 shown]
	v_fma_f16 v29, v8, 0xbbc4, -v40
	v_mul_f16_e32 v33, 0x3770, v36
	v_fma_f16 v22, v42, 0xbbc4, -v22
	v_mul_f16_e32 v34, 0x3770, v5
	v_mul_f16_e32 v36, 0xbb7b, v36
	v_add_f16_e32 v29, v35, v29
	v_fmamk_f16 v35, v42, 0x3b15, v33
	v_fma_f16 v33, v42, 0x3b15, -v33
	v_add_f16_e32 v22, v27, v22
	v_fma_f16 v27, v8, 0x3b15, -v34
	v_fmac_f16_e32 v34, 0x3b15, v8
	v_add_f16_e32 v35, v38, v35
	v_add_f16_e32 v28, v28, v33
	v_sub_f16_e32 v33, v3, v4
	v_add_f16_e32 v27, v30, v27
	v_fmamk_f16 v30, v42, 0xb5ac, v36
	v_mul_f16_e32 v5, 0xbb7b, v5
	v_add_f16_e32 v34, v37, v34
	v_add_f16_e32 v37, v1, v2
	v_mul_f16_e32 v38, 0xb3a8, v33
	v_sub_f16_e32 v1, v1, v2
	v_fmac_f16_e32 v40, 0xbbc4, v8
	v_add_f16_e32 v30, v31, v30
	v_fma_f16 v31, v8, 0xb5ac, -v5
	v_fma_f16 v2, v42, 0xb5ac, -v36
	v_fmac_f16_e32 v5, 0xb5ac, v8
	v_add_f16_e32 v3, v3, v4
	v_fmamk_f16 v4, v37, 0xbbc4, v38
	v_mul_f16_e32 v8, 0xb3a8, v1
	v_add_f16_e32 v31, v32, v31
	v_add_f16_e32 v2, v7, v2
	;; [unrolled: 1-line block ×4, first 2 shown]
	v_fma_f16 v7, v3, 0xbbc4, -v8
	v_mul_f16_e32 v9, 0x3770, v33
	v_fma_f16 v10, v37, 0xbbc4, -v38
	v_fmac_f16_e32 v8, 0xbbc4, v3
	v_mul_f16_e32 v32, 0x3770, v1
	v_add_f16_e32 v7, v11, v7
	v_fmamk_f16 v11, v37, 0x3b15, v9
	v_add_f16_e32 v10, v16, v10
	v_add_f16_e32 v8, v12, v8
	v_fma_f16 v12, v3, 0x3b15, -v32
	v_mul_f16_e32 v16, 0xb94e, v33
	v_fma_f16 v9, v37, 0x3b15, -v9
	v_add_f16_e32 v11, v17, v11
	v_fmac_f16_e32 v32, 0x3b15, v3
	v_add_f16_e32 v12, v18, v12
	v_fmamk_f16 v17, v37, 0xb9fd, v16
	v_mul_f16_e32 v18, 0xb94e, v1
	v_add_f16_e32 v9, v14, v9
	v_mul_f16_e32 v14, 0x3a95, v33
	v_add_f16_e32 v19, v19, v32
	v_add_f16_e32 v17, v21, v17
	v_fma_f16 v21, v3, 0xb9fd, -v18
	v_fma_f16 v16, v37, 0xb9fd, -v16
	v_fmac_f16_e32 v18, 0xb9fd, v3
	v_fmamk_f16 v32, v37, 0x388b, v14
	v_mul_f16_e32 v36, 0x3a95, v1
	v_add_f16_e32 v41, v41, v53
	v_add_f16_e32 v16, v20, v16
	;; [unrolled: 1-line block ×4, first 2 shown]
	v_fma_f16 v23, v3, 0x388b, -v36
	v_mul_f16_e32 v24, 0xbb7b, v33
	v_add_f16_e32 v21, v25, v21
	v_fma_f16 v14, v37, 0x388b, -v14
	v_mul_f16_e32 v25, 0xbb7b, v1
	v_add_f16_e32 v23, v29, v23
	v_fmamk_f16 v29, v37, 0xb5ac, v24
	v_mul_f16_e32 v33, 0x3bf1, v33
	v_add_f16_e32 v41, v41, v49
	v_add_f16_e32 v22, v22, v14
	v_fma_f16 v14, v3, 0xb5ac, -v25
	v_add_f16_e32 v29, v35, v29
	v_fma_f16 v24, v37, 0xb5ac, -v24
	v_fmamk_f16 v35, v37, 0x2fb7, v33
	v_mul_f16_e32 v1, 0x3bf1, v1
	v_add_f16_e32 v41, v41, v45
	v_add_f16_e32 v27, v27, v14
	v_mad_u32_u24 v14, 0x270, v15, 0
	v_add_f16_e32 v24, v28, v24
	v_add_f16_e32 v28, v30, v35
	v_fma_f16 v30, v3, 0x2fb7, -v1
	v_fma_f16 v33, v37, 0x2fb7, -v33
	v_fmac_f16_e32 v1, 0x2fb7, v3
	v_add_f16_e32 v39, v41, v40
	v_fmac_f16_e32 v36, 0x388b, v3
	v_fmac_f16_e32 v25, 0xb5ac, v3
	v_lshl_add_u32 v3, v26, 2, v14
	v_pack_b32_f16 v4, v4, v7
	v_pack_b32_f16 v7, v11, v12
	;; [unrolled: 1-line block ×3, first 2 shown]
	v_add_f16_e32 v12, v31, v30
	v_add_f16_e32 v2, v2, v33
	;; [unrolled: 1-line block ×5, first 2 shown]
	ds_store_2addr_b32 v3, v6, v4 offset1:12
	ds_store_2addr_b32 v3, v7, v11 offset0:24 offset1:36
	v_pack_b32_f16 v4, v20, v23
	v_pack_b32_f16 v5, v29, v27
	;; [unrolled: 1-line block ×9, first 2 shown]
	ds_store_2addr_b32 v3, v4, v5 offset0:48 offset1:60
	ds_store_2addr_b32 v3, v6, v1 offset0:72 offset1:84
	;; [unrolled: 1-line block ×4, first 2 shown]
	ds_store_b32 v3, v8 offset:576
	global_wb scope:SCOPE_SE
	s_wait_dscnt 0x0
	s_barrier_signal -1
	s_barrier_wait -1
	global_inv scope:SCOPE_SE
	s_and_saveexec_b32 s11, s10
	s_cbranch_execz .LBB0_16
; %bb.15:
	v_mul_lo_u16 v1, v15, 20
	v_and_b32_e32 v0, 0xffff, v0
	s_lshl_b64 s[2:3], s[2:3], 2
	s_wait_alu 0xfffe
	s_add_nc_u64 s[0:1], s[0:1], s[2:3]
	v_lshrrev_b16 v1, 8, v1
	v_mul_u32_u24_e32 v0, 0x1a5, v0
	s_delay_alu instid0(VALU_DEP_2) | instskip(NEXT) | instid1(VALU_DEP_2)
	v_mul_lo_u16 v1, v1, 13
	v_lshrrev_b32_e32 v0, 16, v0
	s_delay_alu instid0(VALU_DEP_2) | instskip(SKIP_1) | instid1(VALU_DEP_3)
	v_sub_nc_u16 v1, v15, v1
	v_mul_i32_i24_e32 v15, 0xfffffdc0, v15
	v_mul_lo_u16 v0, 0xa9, v0
	s_delay_alu instid0(VALU_DEP_3) | instskip(NEXT) | instid1(VALU_DEP_2)
	v_and_b32_e32 v27, 0xff, v1
	v_and_b32_e32 v0, 0xffff, v0
	s_delay_alu instid0(VALU_DEP_2)
	v_mul_u32_u24_e32 v1, 12, v27
	v_add_nc_u32_e32 v16, 0x9c, v27
	v_add_nc_u32_e32 v17, 0x8f, v27
	;; [unrolled: 1-line block ×4, first 2 shown]
	v_lshlrev_b32_e32 v9, 2, v1
	v_mul_lo_u32 v16, v13, v16
	v_add_nc_u32_e32 v20, 0x68, v27
	v_mul_lo_u32 v17, v13, v17
	v_mul_lo_u32 v18, v13, v18
	s_clause 0x2
	global_load_b128 v[1:4], v9, s[16:17] offset:16
	global_load_b128 v[5:8], v9, s[16:17]
	global_load_b128 v[9:12], v9, s[16:17] offset:32
	v_mul_lo_u32 v19, v13, v19
	v_mul_lo_u32 v20, v13, v20
	v_lshrrev_b32_e32 v21, 14, v16
	v_and_b32_e32 v22, 0xff, v16
	v_lshrrev_b32_e32 v16, 6, v16
	v_lshrrev_b32_e32 v23, 14, v17
	v_and_b32_e32 v24, 0xff, v17
	v_lshrrev_b32_e32 v17, 6, v17
	;; [unrolled: 3-line block ×5, first 2 shown]
	v_and_b32_e32 v21, 0x3fc, v21
	v_lshlrev_b32_e32 v22, 2, v22
	v_and_b32_e32 v16, 0x3fc, v16
	v_and_b32_e32 v23, 0x3fc, v23
	v_lshlrev_b32_e32 v24, 2, v24
	v_and_b32_e32 v17, 0x3fc, v17
	;; [unrolled: 3-line block ×5, first 2 shown]
	s_clause 0xe
	global_load_b32 v46, v21, s[8:9] offset:2048
	global_load_b32 v68, v22, s[8:9]
	global_load_b32 v66, v16, s[8:9] offset:1024
	global_load_b32 v45, v23, s[8:9] offset:2048
	global_load_b32 v65, v24, s[8:9]
	global_load_b32 v63, v17, s[8:9] offset:1024
	;; [unrolled: 3-line block ×5, first 2 shown]
	v_lshlrev_b32_e32 v16, 2, v26
	v_add_nc_u32_e32 v30, 0x41, v27
	s_delay_alu instid0(VALU_DEP_2)
	v_add3_u32 v16, v14, v15, v16
	ds_load_2addr_b32 v[14:15], v16 offset1:156
	ds_load_b32 v43, v16 offset:7488
	v_add_nc_u32_e32 v17, 0xe00, v16
	v_add_nc_u32_e32 v18, 0x900, v16
	;; [unrolled: 1-line block ×5, first 2 shown]
	ds_load_2addr_b32 v[24:25], v17 offset0:40 offset1:196
	ds_load_2addr_b32 v[20:21], v18 offset0:48 offset1:204
	;; [unrolled: 1-line block ×5, first 2 shown]
	v_add_nc_u32_e32 v28, 0x5b, v27
	v_add_nc_u32_e32 v29, 0x4e, v27
	v_mul_lo_u32 v114, v13, v30
	s_delay_alu instid0(VALU_DEP_3) | instskip(NEXT) | instid1(VALU_DEP_3)
	v_mul_lo_u32 v28, v13, v28
	v_mul_lo_u32 v29, v13, v29
	s_delay_alu instid0(VALU_DEP_3)
	v_lshrrev_b32_e32 v35, 6, v114
	v_lshrrev_b32_e32 v36, 14, v114
	s_wait_dscnt 0x6
	v_lshrrev_b32_e32 v47, 16, v15
	v_and_b32_e32 v30, 0xff, v28
	v_lshrrev_b32_e32 v31, 6, v28
	v_lshrrev_b32_e32 v28, 14, v28
	;; [unrolled: 1-line block ×3, first 2 shown]
	v_and_b32_e32 v32, 0xff, v29
	v_lshrrev_b32_e32 v29, 14, v29
	v_lshlrev_b32_e32 v30, 2, v30
	v_and_b32_e32 v31, 0x3fc, v31
	v_and_b32_e32 v28, 0x3fc, v28
	;; [unrolled: 1-line block ×4, first 2 shown]
	v_lshlrev_b32_e32 v32, 2, v32
	v_and_b32_e32 v29, 0x3fc, v29
	v_and_b32_e32 v36, 0x3fc, v36
	s_clause 0x7
	global_load_b32 v117, v30, s[8:9]
	global_load_b32 v118, v31, s[8:9] offset:1024
	global_load_b32 v119, v28, s[8:9] offset:2048
	;; [unrolled: 1-line block ×5, first 2 shown]
	global_load_b32 v121, v32, s[8:9]
	global_load_b32 v122, v29, s[8:9] offset:2048
	s_wait_dscnt 0x4
	v_lshrrev_b32_e32 v49, 16, v24
	v_lshrrev_b32_e32 v50, 16, v25
	s_wait_dscnt 0x3
	v_lshrrev_b32_e32 v53, 16, v20
	s_wait_dscnt 0x1
	v_lshrrev_b32_e32 v55, 16, v17
	v_lshrrev_b32_e32 v64, 16, v16
	s_wait_dscnt 0x0
	v_lshrrev_b32_e32 v67, 16, v19
	v_lshrrev_b32_e32 v48, 16, v43
	;; [unrolled: 1-line block ×7, first 2 shown]
	v_and_b32_e32 v114, 0xff, v114
	s_delay_alu instid0(VALU_DEP_1)
	v_lshlrev_b32_e32 v114, 2, v114
	s_wait_loadcnt 0x19
	v_lshrrev_b32_e32 v29, 16, v2
	v_lshrrev_b32_e32 v30, 16, v3
	s_wait_loadcnt 0x18
	v_lshrrev_b32_e32 v69, 16, v5
	v_lshrrev_b32_e32 v40, 16, v6
	;; [unrolled: 1-line block ×4, first 2 shown]
	s_wait_loadcnt 0x17
	v_lshrrev_b32_e32 v72, 16, v11
	v_lshrrev_b32_e32 v28, 16, v1
	v_lshrrev_b32_e32 v31, 16, v4
	v_lshrrev_b32_e32 v70, 16, v9
	v_lshrrev_b32_e32 v71, 16, v10
	v_lshrrev_b32_e32 v73, 16, v12
	v_mul_f16_e32 v35, v49, v29
	v_mul_f16_e32 v33, v50, v30
	;; [unrolled: 1-line block ×24, first 2 shown]
	v_fmac_f16_e32 v35, v24, v2
	v_fmac_f16_e32 v33, v25, v3
	v_fma_f16 v25, v49, v2, -v74
	v_fma_f16 v24, v50, v3, -v75
	v_fmac_f16_e32 v39, v6, v16
	v_fmac_f16_e32 v30, v19, v11
	v_fma_f16 v16, v6, v64, -v80
	v_fmac_f16_e32 v40, v5, v15
	v_fma_f16 v19, v5, v47, -v69
	s_wait_loadcnt 0x15
	v_lshrrev_b32_e32 v2, 16, v68
	s_wait_loadcnt 0x14
	v_lshrrev_b32_e32 v3, 16, v66
	;; [unrolled: 2-line block ×4, first 2 shown]
	v_fmac_f16_e32 v37, v8, v20
	v_fmac_f16_e32 v31, v23, v9
	v_fma_f16 v23, v53, v8, -v78
	v_fma_f16 v20, v54, v9, -v70
	v_fmac_f16_e32 v38, v7, v17
	v_fmac_f16_e32 v29, v18, v10
	v_fma_f16 v17, v62, v10, -v71
	v_fma_f16 v10, v67, v11, -v72
	v_fmac_f16_e32 v28, v43, v12
	v_fma_f16 v9, v48, v12, -v73
	s_wait_loadcnt 0xf
	v_lshrrev_b32_e32 v8, 16, v61
	s_wait_loadcnt 0xe
	v_lshrrev_b32_e32 v11, 16, v60
	;; [unrolled: 2-line block ×4, first 2 shown]
	v_mul_f16_e32 v105, v2, v3
	v_mul_f16_e32 v3, v68, v3
	;; [unrolled: 1-line block ×4, first 2 shown]
	v_fmac_f16_e32 v36, v21, v1
	v_fmac_f16_e32 v32, v22, v4
	v_fma_f16 v21, v52, v4, -v77
	v_lshrrev_b32_e32 v4, 16, v45
	s_wait_loadcnt 0x9
	v_lshrrev_b32_e32 v116, 16, v57
	s_wait_loadcnt 0x8
	v_lshrrev_b32_e32 v50, 16, v58
	v_sub_f16_e32 v127, v40, v28
	v_sub_f16_e64 v133, v19, v9
	v_mul_f16_e64 v134, v8, v11
	v_mul_f16_e32 v11, v61, v11
	v_mul_f16_e64 v135, v112, v48
	v_fmac_f16_e32 v3, v2, v66
	v_fma_f16 v2, v65, v63, -v111
	v_fmac_f16_e32 v6, v5, v63
	v_fma_f16 v22, v51, v1, -v76
	v_fma_f16 v18, v7, v55, -v79
	v_lshrrev_b32_e32 v1, 16, v46
	v_lshrrev_b32_e32 v7, 16, v44
	v_sub_f16_e32 v126, v39, v30
	v_add_f16_e32 v72, v19, v9
	v_sub_f16_e64 v132, v16, v10
	v_add_f16_e32 v64, v40, v28
	v_mul_f16_e64 v136, v59, v48
	v_mul_f16_e64 v137, v116, v50
	;; [unrolled: 1-line block ×3, first 2 shown]
	v_mul_f16_e32 v78, 0xb770, v127
	v_mul_f16_e64 v73, 0xb770, v133
	v_mul_f16_e64 v87, 0xba95, v133
	v_fma_f16 v139, v68, v66, -v105
	v_fma_f16 v5, v61, v60, -v134
	v_fmac_f16_e32 v11, v8, v60
	v_fma_f16 v8, v59, v56, -v135
	v_mul_f16_e64 v135, v6, v4
	v_mul_f16_e32 v4, v2, v4
	v_lshrrev_b32_e32 v12, 16, v42
	v_add_f16_e32 v69, v16, v10
	v_add_f16_e32 v54, v39, v30
	v_mul_f16_e32 v77, 0xba95, v126
	v_mul_f16_e32 v94, 0xba95, v127
	v_mul_f16_e64 v85, 0xbb7b, v132
	v_mul_f16_e32 v104, 0xbbf1, v127
	v_fmac_f16_e64 v136, v112, v56
	v_fma_f16 v57, v57, v58, -v137
	v_fmac_f16_e64 v138, v116, v58
	v_mul_f16_e32 v58, v3, v1
	v_fma_f16 v112, v64, 0x3b15, -v73
	v_fmamk_f16 v116, v72, 0x3b15, v78
	v_mul_f16_e64 v1, v139, v1
	v_fma_f16 v135, v45, v2, -v135
	v_mul_f16_e32 v2, v11, v7
	v_fmac_f16_e32 v4, v45, v6
	v_mul_f16_e32 v7, v5, v7
	v_fma_f16 v45, v64, 0x388b, -v87
	v_lshrrev_b32_e32 v113, 16, v41
	v_mul_f16_e32 v93, 0xbb7b, v126
	v_mul_f16_e32 v103, 0xb3a8, v126
	v_mul_f16_e64 v100, 0xbbf1, v133
	v_mul_f16_e32 v109, 0xbb7b, v127
	v_mul_f16_e64 v110, 0xbb7b, v133
	v_fma_f16 v58, v46, v139, -v58
	v_fmac_f16_e32 v1, v46, v3
	v_fmamk_f16 v3, v69, 0x388b, v77
	v_fmamk_f16 v46, v72, 0x388b, v94
	v_fma_f16 v137, v44, v5, -v2
	v_mul_f16_e64 v2, v136, v12
	v_mul_f16_e32 v12, v8, v12
	v_fmac_f16_e32 v7, v44, v11
	v_fma_f16 v5, v54, 0xb5ac, -v85
	v_fmamk_f16 v11, v72, 0x2fb7, v104
	v_add_f16_e32 v44, v112, v14
	v_add_f16_e32 v112, v116, v34
	;; [unrolled: 1-line block ×3, first 2 shown]
	v_sub_f16_e32 v125, v38, v29
	v_sub_f16_e64 v131, v18, v17
	v_mul_f16_e64 v98, 0xb3a8, v132
	v_mul_f16_e32 v108, 0x394e, v126
	v_mul_f16_e64 v107, 0x394e, v132
	v_fmamk_f16 v6, v69, 0xb5ac, v93
	v_fma_f16 v139, v42, v8, -v2
	v_mul_f16_e64 v2, v138, v113
	v_fmac_f16_e64 v12, v42, v136
	v_fmamk_f16 v8, v69, 0xbbc4, v103
	v_fma_f16 v42, v64, 0x2fb7, -v100
	v_add_f16_e32 v46, v46, v34
	v_add_f16_e32 v3, v3, v112
	v_fmamk_f16 v112, v72, 0xb5ac, v109
	v_add_f16_e32 v11, v11, v34
	v_add_f16_e32 v5, v5, v45
	v_fma_f16 v45, v64, 0xb5ac, -v110
	v_add_f16_e32 v67, v18, v17
	v_sub_f16_e64 v130, v23, v20
	v_add_f16_e32 v51, v38, v29
	v_mul_f16_e64 v70, 0xba95, v132
	v_mul_f16_e64 v82, 0xb3a8, v131
	v_mul_f16_e32 v102, 0x3b7b, v125
	v_mul_f16_e64 v96, 0x3b7b, v131
	v_fma_f16 v140, v41, v57, -v2
	v_fma_f16 v2, v54, 0xbbc4, -v98
	v_add_f16_e32 v6, v6, v46
	v_fmamk_f16 v46, v69, 0xb9fd, v108
	v_add_f16_e32 v42, v42, v14
	v_add_f16_e32 v112, v112, v34
	;; [unrolled: 1-line block ×3, first 2 shown]
	v_fma_f16 v11, v54, 0xb9fd, -v107
	v_add_f16_e32 v45, v45, v14
	v_sub_f16_e32 v124, v37, v31
	v_add_f16_e32 v47, v37, v31
	v_mul_f16_e32 v76, 0xbbf1, v125
	v_mul_f16_e64 v62, 0xbbf1, v131
	v_mul_f16_e64 v81, 0x394e, v130
	v_mul_f16_e32 v105, 0x3770, v125
	v_mul_f16_e64 v106, 0x3770, v131
	v_fma_f16 v134, v54, 0x388b, -v70
	v_mul_f16_e64 v136, v57, v113
	v_add_f16_e32 v2, v2, v42
	v_fma_f16 v42, v51, 0xbbc4, -v82
	v_add_f16_e32 v46, v46, v112
	v_fmamk_f16 v112, v67, 0xb5ac, v102
	v_add_f16_e32 v11, v11, v45
	v_fma_f16 v45, v51, 0xb5ac, -v96
	v_sub_f16_e32 v123, v36, v32
	v_add_f16_e32 v55, v23, v20
	v_sub_f16_e64 v129, v22, v21
	v_mul_f16_e32 v75, 0xbb7b, v124
	v_mul_f16_e64 v53, 0xbb7b, v130
	v_mul_f16_e32 v90, 0xb3a8, v125
	v_mul_f16_e32 v101, 0x3770, v124
	v_mul_f16_e64 v95, 0x3770, v130
	v_mul_f16_e32 v66, 0xbbf1, v124
	v_fmac_f16_e64 v136, v41, v138
	v_fma_f16 v41, v51, 0x2fb7, -v62
	v_fmamk_f16 v57, v67, 0x2fb7, v76
	v_add_f16_e64 v44, v134, v44
	v_add_f16_e32 v5, v42, v5
	v_fmamk_f16 v42, v67, 0x3b15, v105
	v_add_f16_e32 v8, v112, v8
	v_fma_f16 v112, v51, 0x3b15, -v106
	v_add_f16_e32 v2, v45, v2
	v_fma_f16 v45, v47, 0xb9fd, -v81
	v_sub_f16_e32 v115, v35, v33
	v_add_f16_e32 v52, v22, v21
	v_sub_f16_e64 v128, v25, v24
	v_add_f16_e32 v43, v36, v32
	v_mul_f16_e32 v74, 0xb94e, v123
	v_mul_f16_e64 v50, 0xb94e, v129
	v_mul_f16_e32 v88, 0x394e, v124
	v_mul_f16_e64 v80, 0x3bf1, v129
	;; [unrolled: 2-line block ×3, first 2 shown]
	v_fmamk_f16 v113, v67, 0xbbc4, v90
	v_add_f16_e32 v41, v41, v44
	v_fma_f16 v44, v47, 0xb5ac, -v53
	v_add_f16_e32 v3, v57, v3
	v_fmamk_f16 v57, v55, 0xb5ac, v75
	v_add_f16_e32 v42, v42, v46
	v_fmamk_f16 v46, v55, 0x3b15, v101
	v_add_f16_e32 v11, v112, v11
	v_fma_f16 v112, v47, 0x3b15, -v95
	v_add_f16_e32 v5, v45, v5
	v_fmamk_f16 v45, v55, 0x2fb7, v66
	v_add_f16_e32 v49, v25, v24
	v_add_f16_e32 v15, v35, v33
	v_mul_f16_e32 v71, 0xb3a8, v115
	v_mul_f16_e64 v48, 0xb3a8, v128
	v_mul_f16_e32 v86, 0x3bf1, v123
	v_mul_f16_e64 v92, 0xba95, v129
	;; [unrolled: 2-line block ×3, first 2 shown]
	v_add_f16_e32 v6, v113, v6
	v_fmamk_f16 v113, v55, 0xb9fd, v88
	v_add_f16_e32 v41, v44, v41
	v_fma_f16 v44, v43, 0xb9fd, -v50
	v_add_f16_e32 v3, v57, v3
	v_fmamk_f16 v57, v52, 0xb9fd, v74
	v_add_f16_e32 v8, v46, v8
	v_fma_f16 v46, v47, 0x2fb7, -v68
	v_add_f16_e32 v2, v112, v2
	v_fma_f16 v112, v43, 0x2fb7, -v80
	v_add_f16_e32 v42, v45, v42
	v_fmamk_f16 v45, v52, 0x388b, v99
	v_mul_f16_e64 v79, 0x3770, v128
	v_mul_f16_e32 v83, 0x3770, v115
	v_mul_f16_e64 v91, 0xb94e, v128
	v_mul_f16_e32 v97, 0xb94e, v115
	v_add_f16_e32 v6, v113, v6
	v_fmamk_f16 v113, v52, 0x2fb7, v86
	v_add_f16_e32 v11, v46, v11
	v_fma_f16 v46, v43, 0x388b, -v92
	v_add_f16_e32 v41, v44, v41
	v_fma_f16 v44, v15, 0xbbc4, -v48
	v_add_f16_e32 v3, v57, v3
	v_fmamk_f16 v57, v49, 0xbbc4, v71
	v_add_f16_e32 v5, v112, v5
	v_fmamk_f16 v112, v52, 0xbbc4, v65
	v_add_f16_e32 v8, v45, v8
	v_fma_f16 v45, v43, 0xbbc4, -v63
	v_mul_f16_e64 v61, 0x3a95, v128
	v_add_f16_e32 v6, v113, v6
	v_fma_f16 v113, v15, 0x3b15, -v79
	v_add_f16_e32 v2, v46, v2
	v_fmamk_f16 v46, v49, 0x3b15, v83
	v_add_f16_e32 v42, v112, v42
	v_fma_f16 v112, v15, 0xb9fd, -v91
	v_add_f16_e32 v11, v45, v11
	v_fmamk_f16 v45, v49, 0xb9fd, v97
	v_add_f16_e32 v41, v44, v41
	v_add_f16_e32 v57, v57, v3
	v_mul_f16_e32 v60, 0x3a95, v115
	v_mul_f16_e32 v111, 0xb94e, v127
	v_mul_f16_e64 v56, 0xb94e, v133
	v_fma_f16 v44, v15, 0x388b, -v61
	v_add_f16_e32 v113, v113, v5
	v_add_f16_e32 v6, v46, v6
	;; [unrolled: 1-line block ×4, first 2 shown]
	v_mul_f16_e32 v2, v41, v1
	v_mul_f16_e32 v1, v57, v1
	;; [unrolled: 1-line block ×3, first 2 shown]
	v_fmamk_f16 v116, v49, 0x388b, v60
	v_fma_f16 v134, 0xb9fd, v72, v111
	v_add_f16_e32 v11, v44, v11
	v_mul_f16_e32 v44, v113, v4
	v_mul_f16_e32 v45, v46, v7
	;; [unrolled: 1-line block ×3, first 2 shown]
	v_fmac_f16_e32 v1, v41, v58
	v_fma_f16 v7, v64, 0xb9fd, -v56
	v_mul_f16_e64 v41, 0x3bf1, v132
	v_mul_f16_e32 v3, v6, v4
	v_fma_f16 v2, v57, v58, -v2
	v_fma_f16 v4, v6, v135, -v44
	;; [unrolled: 1-line block ×3, first 2 shown]
	v_fmac_f16_e64 v5, v46, v137
	v_add_f16_e32 v8, v116, v42
	v_add_f16_e64 v45, v134, v34
	v_fmamk_f16 v46, v69, 0x2fb7, v59
	v_add_f16_e32 v7, v7, v14
	v_fma_f16 v57, v54, 0x2fb7, -v41
	v_mul_f16_e32 v42, 0xba95, v125
	v_mul_f16_e64 v44, 0xba95, v131
	v_fmac_f16_e64 v3, v113, v135
	v_add_f16_e32 v112, v46, v45
	v_add_f16_e32 v57, v57, v7
	v_fmamk_f16 v113, v67, 0x388b, v42
	v_fma_f16 v116, v51, 0x388b, -v44
	v_mul_f16_e32 v45, 0x33a8, v124
	v_mul_f16_e64 v46, 0x33a8, v130
	v_mul_f16_e32 v58, v11, v12
	v_mul_f16_e32 v7, v8, v12
	v_add_f16_e32 v12, v113, v112
	v_add_f16_e32 v113, v116, v57
	v_fmamk_f16 v116, v55, 0xbbc4, v45
	v_fma_f16 v134, v47, 0xbbc4, -v46
	v_mul_f16_e32 v57, 0x3770, v123
	v_mul_f16_e64 v112, 0x3770, v129
	v_fma_f16 v8, v8, v139, -v58
	v_add_f16_e32 v12, v116, v12
	v_add_f16_e64 v113, v134, v113
	v_fmamk_f16 v116, v52, 0x3b15, v57
	v_fma_f16 v134, v43, 0x3b15, -v112
	v_mul_f16_e64 v58, 0xbb7b, v128
	s_wait_loadcnt 0x6
	v_lshrrev_b32_e32 v135, 16, v118
	v_fmac_f16_e64 v7, v11, v139
	v_add_f16_e32 v12, v116, v12
	v_add_f16_e64 v116, v134, v113
	v_fma_f16 v134, v15, 0xb5ac, -v58
	v_mul_f16_e32 v113, 0xbb7b, v115
	v_mul_f16_e32 v127, 0xb3a8, v127
	;; [unrolled: 1-line block ×4, first 2 shown]
	v_add_f16_e64 v116, v134, v116
	v_fma_f16 v134, 0xb5ac, v49, v113
	v_fma_f16 v137, 0xbbc4, v72, v127
	v_mul_f16_e64 v133, 0xb3a8, v133
	v_mul_f16_e64 v132, 0x3770, v132
	;; [unrolled: 1-line block ×3, first 2 shown]
	v_add_f16_e64 v12, v134, v12
	v_mul_f16_e64 v134, v116, v136
	v_mul_f16_e32 v123, 0xbb7b, v123
	v_mul_f16_e64 v130, 0x3a95, v130
	v_mul_f16_e64 v129, 0xbb7b, v129
	;; [unrolled: 1-line block ×3, first 2 shown]
	v_fma_f16 v12, v12, v140, -v134
	v_lshrrev_b32_e32 v134, 16, v117
	v_mul_f16_e64 v136, v117, v135
	v_mul_f16_e64 v128, 0x3bf1, v128
	v_fmac_f16_e64 v11, v116, v140
	global_load_b32 v116, v114, s[8:9]
	v_mul_f16_e64 v135, v134, v135
	v_fmac_f16_e64 v136, v134, v118
	s_wait_loadcnt 0x6
	v_lshrrev_b32_e32 v134, 16, v119
	v_fma_f16 v127, v72, 0xbbc4, -v127
	v_mul_lo_u32 v139, v13, v27
	v_fma_f16 v114, v117, v118, -v135
	v_add_f16_e64 v118, v137, v34
	v_mul_f16_e64 v117, v136, v134
	v_fma_f16 v135, 0x3b15, v69, v126
	s_wait_loadcnt 0x5
	v_lshrrev_b32_e32 v137, 16, v120
	v_mul_f16_e64 v134, v114, v134
	v_fma_f16 v126, v69, 0x3b15, -v126
	v_fma_f16 v114, v119, v114, -v117
	v_add_f16_e64 v117, v135, v118
	v_fmamk_f16 v118, v67, 0xb9fd, v125
	v_fma_f16 v135, v64, 0xbbc4, -v133
	v_fmac_f16_e64 v134, v119, v136
	v_mul_f16_e32 v119, 0x3a95, v124
	v_fma_f16 v124, v54, 0x3b15, -v132
	v_add_f16_e32 v117, v118, v117
	v_add_f16_e64 v118, v135, v14
	s_wait_loadcnt 0x2
	v_lshrrev_b32_e32 v136, 16, v121
	v_fma_f16 v135, 0x388b, v55, v119
	v_add_f16_e32 v127, v127, v34
	v_fma_f16 v125, v67, 0xb9fd, -v125
	v_add_f16_e32 v118, v124, v118
	v_fma_f16 v124, v51, 0xb9fd, -v131
	v_add_f16_e64 v117, v135, v117
	v_mul_f16_e64 v135, v136, v137
	v_add_f16_e32 v126, v126, v127
	v_fma_f16 v119, v55, 0x388b, -v119
	v_add_f16_e32 v118, v124, v118
	v_mul_f16_e64 v124, v121, v137
	v_fma_f16 v137, 0xb5ac, v52, v123
	v_fma_f16 v121, v121, v120, -v135
	v_fma_f16 v135, v47, 0x388b, -v130
	v_add_f16_e32 v125, v125, v126
	v_fmac_f16_e64 v124, v136, v120
	s_wait_loadcnt 0x1
	v_lshrrev_b32_e32 v136, 16, v122
	v_add_nc_u32_e32 v120, 52, v27
	v_add_f16_e64 v117, v137, v117
	v_add_f16_e64 v118, v135, v118
	v_fma_f16 v135, v43, 0xb5ac, -v129
	v_mul_f16_e64 v137, v124, v136
	v_mul_lo_u32 v120, v13, v120
	v_mul_f16_e64 v136, v121, v136
	v_add_f16_e32 v119, v119, v125
	v_add_f16_e64 v118, v135, v118
	v_fma_f16 v121, v122, v121, -v137
	v_add_nc_u32_e32 v137, 39, v27
	v_fmac_f16_e64 v136, v122, v124
	v_fma_f16 v135, v15, 0x2fb7, -v128
	v_and_b32_e32 v122, 0xff, v120
	v_lshrrev_b32_e32 v124, 6, v120
	v_mul_lo_u32 v137, v13, v137
	v_lshrrev_b32_e32 v120, 14, v120
	v_add_f16_e64 v118, v135, v118
	v_lshlrev_b32_e32 v122, 2, v122
	v_mul_f16_e64 v135, 0x3bf1, v115
	v_add_nc_u32_e32 v115, 26, v27
	v_and_b32_e32 v124, 0x3fc, v124
	s_clause 0x1
	global_load_b32 v122, v122, s[8:9]
	global_load_b32 v124, v124, s[8:9] offset:1024
	v_lshrrev_b32_e32 v127, 14, v137
	v_mul_lo_u32 v115, v13, v115
	v_and_b32_e32 v120, 0x3fc, v120
	v_fmac_f16_e64 v133, 0xbbc4, v64
	v_fmac_f16_e64 v132, 0x3b15, v54
	v_and_b32_e32 v126, 0x3fc, v127
	v_fma_f16 v127, 0x2fb7, v49, v135
	s_clause 0x1
	global_load_b32 v126, v126, s[8:9] offset:2048
	global_load_b32 v120, v120, s[8:9] offset:2048
	v_add_f16_e32 v117, v127, v117
	v_lshrrev_b32_e32 v127, 6, v137
	v_lshrrev_b32_e32 v125, 14, v115
	v_and_b32_e32 v137, 0xff, v137
	v_add_f16_e64 v133, v133, v14
	v_fmac_f16_e64 v131, 0xb9fd, v51
	v_and_b32_e32 v127, 0x3fc, v127
	v_and_b32_e32 v125, 0x3fc, v125
	v_lshlrev_b32_e32 v137, 2, v137
	s_clause 0x2
	global_load_b32 v127, v127, s[8:9] offset:1024
	global_load_b32 v125, v125, s[8:9] offset:2048
	global_load_b32 v137, v137, s[8:9]
	v_add_f16_e64 v132, v132, v133
	v_and_b32_e32 v133, 0xff, v115
	v_lshrrev_b32_e32 v115, 6, v115
	v_fma_f16 v123, v52, 0xb5ac, -v123
	v_fmac_f16_e64 v130, 0x388b, v47
	v_add_f16_e64 v131, v131, v132
	v_lshlrev_b32_e32 v133, 2, v133
	v_and_b32_e32 v115, 0x3fc, v115
	s_clause 0x1
	global_load_b32 v133, v133, s[8:9]
	global_load_b32 v138, v115, s[8:9] offset:1024
	v_add_nc_u32_e32 v115, 13, v27
	v_fmac_f16_e64 v129, 0xb5ac, v43
	v_fmac_f16_e32 v56, 0xb9fd, v64
	v_fma_f16 v111, v72, 0xb9fd, -v111
	v_fmac_f16_e64 v128, 0x2fb7, v15
	v_mul_lo_u32 v132, v13, v115
	v_mul_f16_e64 v115, v118, v134
	v_mul_f16_e64 v13, v117, v134
	v_and_b32_e32 v134, 0xff, v139
	v_fma_f16 v135, v49, 0x2fb7, -v135
	v_fmac_f16_e32 v41, 0x2fb7, v54
	v_fma_f16 v115, v117, v114, -v115
	v_add_f16_e32 v117, v123, v119
	v_and_b32_e32 v119, 0xff, v132
	v_add_f16_e64 v123, v130, v131
	v_lshrrev_b32_e32 v130, 6, v132
	v_lshrrev_b32_e32 v131, 14, v132
	;; [unrolled: 1-line block ×3, first 2 shown]
	v_lshlrev_b32_e32 v119, 2, v119
	v_add_f16_e64 v123, v129, v123
	v_and_b32_e32 v130, 0x3fc, v130
	v_and_b32_e32 v131, 0x3fc, v131
	;; [unrolled: 1-line block ×3, first 2 shown]
	s_clause 0x3
	global_load_b32 v119, v119, s[8:9]
	global_load_b32 v130, v130, s[8:9] offset:1024
	global_load_b32 v132, v132, s[8:9] offset:2048
	;; [unrolled: 1-line block ×3, first 2 shown]
	v_lshrrev_b32_e32 v129, 6, v139
	v_lshlrev_b32_e32 v134, 2, v134
	v_add_f16_e32 v56, v56, v14
	v_fma_f16 v59, v69, 0x2fb7, -v59
	v_add_f16_e32 v111, v111, v34
	v_and_b32_e32 v129, 0x3fc, v129
	s_clause 0x1
	global_load_b32 v129, v129, s[8:9] offset:1024
	global_load_b32 v134, v134, s[8:9]
	v_add_f16_e64 v123, v128, v123
	v_add_f16_e64 v117, v135, v117
	v_lshrrev_b32_e32 v135, 16, v89
	v_add_f16_e32 v41, v41, v56
	v_fmac_f16_e32 v44, 0x388b, v51
	v_add_f16_e32 v59, v59, v111
	v_fma_f16 v42, v67, 0x388b, -v42
	v_fmac_f16_e32 v46, 0xbbc4, v47
	v_fma_f16 v45, v55, 0xbbc4, -v45
	v_add_f16_e32 v41, v44, v41
	v_fmac_f16_e32 v112, 0x3b15, v43
	v_add_f16_e32 v42, v42, v59
	v_fmac_f16_e32 v58, 0xb5ac, v15
	v_fmac_f16_e32 v110, 0xb5ac, v64
	v_add_f16_e32 v41, v46, v41
	v_fma_f16 v59, v72, 0xb5ac, -v109
	v_add_f16_e32 v42, v45, v42
	v_fma_f16 v45, v52, 0x3b15, -v57
	v_mul_f16_e64 v57, v123, v136
	v_add_f16_e32 v41, v112, v41
	v_fmac_f16_e32 v107, 0xb9fd, v54
	v_fmac_f16_e32 v106, 0x3b15, v51
	v_add_f16_e32 v42, v45, v42
	v_fma_f16 v45, v49, 0xb5ac, -v113
	v_add_f16_e32 v41, v58, v41
	v_fmac_f16_e32 v68, 0x2fb7, v47
	v_fmac_f16_e32 v63, 0xbbc4, v43
	;; [unrolled: 1-line block ×3, first 2 shown]
	v_add_f16_e32 v42, v45, v42
	v_fmac_f16_e32 v73, 0x3b15, v64
	v_add_f16_e32 v19, v19, v34
	v_fmac_f16_e32 v100, 0x2fb7, v64
	v_fmac_f16_e32 v87, 0x388b, v64
	;; [unrolled: 1-line block ×5, first 2 shown]
	v_add_f16_e32 v54, v73, v14
	v_add_f16_e32 v16, v19, v16
	;; [unrolled: 1-line block ×3, first 2 shown]
	v_fmac_f16_e32 v96, 0xb5ac, v51
	v_fmac_f16_e32 v82, 0xbbc4, v51
	;; [unrolled: 1-line block ×3, first 2 shown]
	v_add_f16_e32 v51, v70, v54
	v_add_f16_e32 v16, v16, v18
	v_fmac_f16_e32 v53, 0xb5ac, v47
	v_fmac_f16_e32 v50, 0xb9fd, v43
	v_fmac_f16_e32 v91, 0xb9fd, v15
	v_fmac_f16_e32 v79, 0x3b15, v15
	v_add_f16_e32 v16, v16, v23
	v_fmac_f16_e32 v48, 0xbbc4, v15
	v_add_f16_e32 v85, v85, v87
	v_add_nc_u32_e32 v27, v27, v0
	v_fmac_f16_e32 v95, 0x3b15, v47
	v_add_f16_e32 v16, v16, v22
	v_fmac_f16_e32 v81, 0xb9fd, v47
	v_fmac_f16_e32 v92, 0x388b, v43
	;; [unrolled: 1-line block ×3, first 2 shown]
	v_mul_f16_e64 v58, v117, v136
	v_add_f16_e32 v16, v16, v25
	v_fmac_f16_e32 v13, v118, v114
	s_delay_alu instid0(VALU_DEP_3) | instskip(SKIP_2) | instid1(VALU_DEP_1)
	v_fmac_f16_e32 v58, v123, v121
	s_wait_loadcnt 0xf
	v_lshrrev_b32_e32 v128, 16, v116
	v_mul_f16_e64 v56, v128, v135
	v_mul_f16_e64 v135, v116, v135
	s_delay_alu instid0(VALU_DEP_2) | instskip(SKIP_1) | instid1(VALU_DEP_3)
	v_fma_f16 v44, v116, v89, -v56
	v_lshrrev_b32_e32 v56, 16, v84
	v_fmac_f16_e64 v135, v128, v89
	s_delay_alu instid0(VALU_DEP_2) | instskip(NEXT) | instid1(VALU_DEP_2)
	v_mul_f16_e32 v46, v44, v56
	v_mul_f16_e64 v56, v135, v56
	s_delay_alu instid0(VALU_DEP_2) | instskip(NEXT) | instid1(VALU_DEP_2)
	v_fmac_f16_e64 v46, v84, v135
	v_fma_f16 v44, v84, v44, -v56
	v_add_f16_e32 v84, v110, v14
	v_fma_f16 v56, v117, v121, -v57
	s_delay_alu instid0(VALU_DEP_4) | instskip(SKIP_1) | instid1(VALU_DEP_4)
	v_mul_f16_e32 v45, v41, v46
	v_mul_f16_e32 v46, v42, v46
	v_add_f16_e32 v84, v107, v84
	s_delay_alu instid0(VALU_DEP_3) | instskip(NEXT) | instid1(VALU_DEP_3)
	v_fma_f16 v42, v42, v44, -v45
	v_fmac_f16_e32 v46, v41, v44
	v_fma_f16 v41, v69, 0xb9fd, -v108
	v_add_f16_e32 v44, v59, v34
	v_add_f16_e32 v84, v106, v84
	s_delay_alu instid0(VALU_DEP_2) | instskip(SKIP_1) | instid1(VALU_DEP_1)
	v_add_f16_e32 v41, v41, v44
	v_fma_f16 v44, v67, 0x3b15, -v105
	v_add_f16_e32 v41, v44, v41
	v_fma_f16 v44, v55, 0x2fb7, -v66
	s_delay_alu instid0(VALU_DEP_1) | instskip(SKIP_1) | instid1(VALU_DEP_1)
	v_add_f16_e32 v41, v44, v41
	v_fma_f16 v44, v52, 0xbbc4, -v65
	v_add_f16_e32 v41, v44, v41
	v_fma_f16 v44, v49, 0x388b, -v60
	s_delay_alu instid0(VALU_DEP_1) | instskip(SKIP_4) | instid1(VALU_DEP_1)
	v_add_f16_e32 v41, v44, v41
	s_wait_loadcnt 0xe
	v_lshrrev_b32_e32 v45, 16, v122
	s_wait_loadcnt 0xd
	v_lshrrev_b32_e32 v57, 16, v124
	v_mul_f16_e32 v59, v45, v57
	v_mul_f16_e32 v57, v122, v57
	s_delay_alu instid0(VALU_DEP_2) | instskip(SKIP_2) | instid1(VALU_DEP_3)
	v_fma_f16 v59, v122, v124, -v59
	s_wait_loadcnt 0xb
	v_lshrrev_b32_e32 v89, 16, v120
	v_fmac_f16_e32 v57, v45, v124
	v_add_f16_e32 v45, v68, v84
	v_fma_f16 v68, v69, 0xbbc4, -v103
	v_fma_f16 v84, v69, 0xb5ac, -v93
	v_mul_f16_e32 v66, v59, v89
	v_mul_f16_e32 v65, v57, v89
	v_add_f16_e32 v45, v63, v45
	v_fma_f16 v69, v69, 0x388b, -v77
	s_wait_loadcnt 0xa
	v_lshrrev_b32_e32 v63, 16, v127
	v_fmac_f16_e32 v66, v120, v57
	s_wait_loadcnt 0x8
	v_lshrrev_b32_e32 v57, 16, v137
	v_add_f16_e32 v45, v61, v45
	v_fma_f16 v44, v120, v59, -v65
	v_mul_f16_e64 v60, v137, v63
	v_mul_f16_e32 v65, v41, v66
	v_mul_f16_e32 v59, v57, v63
	v_fma_f16 v63, v72, 0x2fb7, -v104
	v_mul_f16_e32 v61, v45, v66
	v_fmac_f16_e32 v60, v57, v127
	v_lshrrev_b32_e32 v57, 16, v126
	v_fma_f16 v59, v137, v127, -v59
	v_add_f16_e32 v63, v63, v34
	v_fma_f16 v41, v41, v44, -v61
	v_fmac_f16_e32 v65, v45, v44
	v_mul_f16_e32 v66, v60, v57
	v_mul_f16_e32 v57, v59, v57
	v_add_f16_e32 v45, v68, v63
	s_wait_loadcnt 0x6
	v_lshrrev_b32_e32 v61, 16, v138
	v_fma_f16 v68, v52, 0x388b, -v99
	v_fma_f16 v44, v126, v59, -v66
	;; [unrolled: 1-line block ×3, first 2 shown]
	v_fmac_f16_e32 v57, v126, v60
	v_lshrrev_b32_e32 v60, 16, v133
	v_add_f16_e32 v63, v100, v14
	v_add_f16_e32 v14, v40, v14
	;; [unrolled: 1-line block ×3, first 2 shown]
	v_fma_f16 v59, v55, 0x3b15, -v101
	v_mul_f16_e32 v66, v60, v61
	v_mul_f16_e64 v61, v133, v61
	v_add_f16_e32 v14, v14, v39
	v_add_f16_e32 v63, v98, v63
	;; [unrolled: 1-line block ×3, first 2 shown]
	v_fma_f16 v59, v72, 0x388b, -v94
	v_fma_f16 v72, v72, 0x3b15, -v78
	;; [unrolled: 1-line block ×3, first 2 shown]
	v_lshrrev_b32_e32 v78, 16, v125
	v_add_f16_e32 v45, v68, v45
	v_add_f16_e32 v59, v59, v34
	;; [unrolled: 1-line block ×3, first 2 shown]
	v_fma_f16 v68, v67, 0xbbc4, -v90
	v_fmac_f16_e64 v61, v60, v138
	v_mul_f16_e32 v77, v66, v78
	v_add_f16_e32 v59, v84, v59
	v_fma_f16 v67, v67, 0x2fb7, -v76
	v_add_f16_e32 v69, v69, v72
	v_mul_f16_e32 v78, v61, v78
	v_fmac_f16_e32 v77, v125, v61
	v_add_f16_e32 v59, v68, v59
	v_fma_f16 v68, v55, 0xb9fd, -v88
	v_fma_f16 v55, v55, 0xb5ac, -v75
	v_add_f16_e32 v61, v67, v69
	s_wait_loadcnt 0x4
	v_lshrrev_b32_e32 v34, 16, v130
	v_add_f16_e32 v14, v14, v38
	v_add_f16_e32 v59, v68, v59
	v_fma_f16 v68, v52, 0x2fb7, -v86
	v_fma_f16 v52, v52, 0xb9fd, -v74
	v_add_f16_e32 v55, v55, v61
	s_wait_loadcnt 0x2
	v_lshrrev_b32_e32 v61, 16, v131
	v_mul_f16_e32 v23, v119, v34
	v_add_f16_e32 v14, v14, v37
	v_fma_f16 v84, v49, 0xb9fd, -v97
	v_add_f16_e32 v52, v52, v55
	v_lshrrev_b32_e32 v55, 16, v119
	v_add_f16_e32 v60, v82, v85
	v_add_f16_e32 v14, v14, v36
	v_fma_f16 v82, v49, 0x3b15, -v83
	v_fma_f16 v49, v49, 0xbbc4, -v71
	v_mul_f16_e32 v19, v55, v34
	v_fmac_f16_e64 v23, v55, v130
	v_add_f16_e32 v14, v14, v35
	v_add_f16_e32 v63, v96, v63
	;; [unrolled: 1-line block ×3, first 2 shown]
	v_fma_f16 v18, v119, v130, -v19
	v_add_f16_e32 v19, v62, v51
	v_add_f16_e32 v14, v14, v33
	;; [unrolled: 1-line block ×4, first 2 shown]
	v_mul_f16_e32 v22, v18, v61
	v_add_f16_e32 v19, v53, v19
	v_add_f16_e32 v14, v14, v32
	;; [unrolled: 1-line block ×4, first 2 shown]
	v_fmac_f16_e64 v22, v131, v23
	v_add_f16_e32 v15, v50, v19
	v_mul_f16_e32 v19, v23, v61
	v_add_f16_e32 v23, v49, v52
	v_add_f16_e32 v14, v14, v31
	;; [unrolled: 1-line block ×5, first 2 shown]
	v_fma_f16 v24, v131, v18, -v19
	v_lshrrev_b32_e32 v19, 16, v132
	v_add_f16_e32 v59, v68, v59
	v_mul_f16_e32 v16, v25, v22
	v_add_f16_e32 v15, v15, v21
	v_mul_f16_e32 v22, v23, v22
	;; [unrolled: 2-line block ×3, first 2 shown]
	v_fma_f16 v33, v23, v24, -v16
	v_add_f16_e32 v15, v15, v20
	s_wait_loadcnt 0x1
	v_lshrrev_b32_e32 v16, 16, v129
	v_add_f16_e32 v20, v14, v29
	v_fmac_f16_e32 v22, v25, v24
	v_mul_f16_e32 v57, v45, v57
	v_add_f16_e32 v17, v15, v17
	s_wait_loadcnt 0x0
	v_lshrrev_b32_e32 v15, 16, v134
	v_mul_f16_e64 v18, v134, v16
	v_add_f16_e32 v59, v82, v59
	v_fma_f16 v66, v125, v66, -v78
	v_add_f16_e32 v10, v17, v10
	v_mul_f16_e32 v16, v15, v16
	v_fmac_f16_e64 v18, v15, v129
	v_mad_co_u64_u32 v[14:15], null, s6, v26, 0
	v_mul_f16_e32 v67, v60, v77
	s_delay_alu instid0(VALU_DEP_4)
	v_fma_f16 v21, v134, v129, -v16
	v_add_f16_e32 v16, v20, v30
	v_mul_f16_e32 v20, v18, v19
	v_fma_f16 v45, v45, v44, -v68
	v_fmac_f16_e32 v57, v63, v44
	v_mul_f16_e32 v29, v21, v19
	v_mov_b32_e32 v0, v15
	v_add_f16_e32 v28, v16, v28
	v_mad_co_u64_u32 v[16:17], null, s4, v27, 0
	s_delay_alu instid0(VALU_DEP_4) | instskip(NEXT) | instid1(VALU_DEP_4)
	v_fmac_f16_e64 v29, v132, v18
	v_mad_co_u64_u32 v[18:19], null, s7, v26, v[0:1]
	v_add_f16_e32 v26, v10, v9
	v_fma_f16 v20, v132, v21, -v20
	s_delay_alu instid0(VALU_DEP_4)
	v_mul_f16_e32 v21, v28, v29
	v_mov_b32_e32 v0, v17
	v_fma_f16 v44, v59, v66, -v67
	v_mul_f16_e32 v23, v26, v29
	v_add_nc_u32_e32 v29, 13, v27
	v_mov_b32_e32 v15, v18
	v_mad_co_u64_u32 v[9:10], null, s5, v27, v[0:1]
	v_fma_f16 v21, v26, v20, -v21
	s_delay_alu instid0(VALU_DEP_4) | instskip(NEXT) | instid1(VALU_DEP_4)
	v_mad_co_u64_u32 v[18:19], null, s4, v29, 0
	v_lshlrev_b64_e32 v[14:15], 2, v[14:15]
	v_add_nc_u32_e32 v26, 26, v27
	v_fmac_f16_e32 v23, v28, v20
	v_dual_mov_b32 v17, v9 :: v_dual_add_nc_u32 v28, 39, v27
	v_mul_f16_e32 v59, v59, v77
	v_mov_b32_e32 v0, v19
	v_add_co_u32 v24, vcc_lo, s0, v14
	s_wait_alu 0xfffd
	v_add_co_ci_u32_e32 v25, vcc_lo, s1, v15, vcc_lo
	s_delay_alu instid0(VALU_DEP_3) | instskip(SKIP_4) | instid1(VALU_DEP_4)
	v_mad_co_u64_u32 v[14:15], null, s5, v29, v[0:1]
	v_lshlrev_b64_e32 v[9:10], 2, v[16:17]
	v_mad_co_u64_u32 v[15:16], null, s4, v26, 0
	v_pack_b32_f16 v23, v23, v21
	v_mad_co_u64_u32 v[20:21], null, s4, v28, 0
	v_add_co_u32 v9, vcc_lo, v24, v9
	s_wait_alu 0xfffd
	v_add_co_ci_u32_e32 v10, vcc_lo, v25, v10, vcc_lo
	v_dual_mov_b32 v0, v16 :: v_dual_mov_b32 v19, v14
	v_fmac_f16_e32 v59, v60, v66
	global_store_b32 v[9:10], v23, off
	v_mad_co_u64_u32 v[9:10], null, s5, v26, v[0:1]
	v_mov_b32_e32 v0, v21
	v_add_nc_u32_e32 v26, 52, v27
	v_lshlrev_b64_e32 v[16:17], 2, v[18:19]
	v_pack_b32_f16 v10, v22, v33
	s_delay_alu instid0(VALU_DEP_4) | instskip(NEXT) | instid1(VALU_DEP_4)
	v_mad_co_u64_u32 v[21:22], null, s5, v28, v[0:1]
	v_mad_co_u64_u32 v[22:23], null, s4, v26, 0
	s_delay_alu instid0(VALU_DEP_4)
	v_add_co_u32 v18, vcc_lo, v24, v16
	s_wait_alu 0xfffd
	v_add_co_ci_u32_e32 v19, vcc_lo, v25, v17, vcc_lo
	v_mov_b32_e32 v16, v9
	v_add_nc_u32_e32 v28, 0x41, v27
	v_mov_b32_e32 v0, v23
	global_store_b32 v[18:19], v10, off
	v_lshlrev_b64_e32 v[9:10], 2, v[15:16]
	v_mad_co_u64_u32 v[14:15], null, s4, v28, 0
	v_mad_co_u64_u32 v[18:19], null, s5, v26, v[0:1]
	v_lshlrev_b64_e32 v[16:17], 2, v[20:21]
	s_delay_alu instid0(VALU_DEP_4)
	v_add_co_u32 v9, vcc_lo, v24, v9
	s_wait_alu 0xfffd
	v_add_co_ci_u32_e32 v10, vcc_lo, v25, v10, vcc_lo
	v_mov_b32_e32 v0, v15
	v_pack_b32_f16 v19, v59, v44
	v_add_co_u32 v15, vcc_lo, v24, v16
	v_mov_b32_e32 v23, v18
	v_add_nc_u32_e32 v21, 0x4e, v27
	s_wait_alu 0xfffd
	v_add_co_ci_u32_e32 v16, vcc_lo, v25, v17, vcc_lo
	v_mad_co_u64_u32 v[17:18], null, s5, v28, v[0:1]
	v_pack_b32_f16 v20, v57, v45
	global_store_b32 v[9:10], v19, off
	v_lshlrev_b64_e32 v[9:10], 2, v[22:23]
	v_mad_co_u64_u32 v[18:19], null, s4, v21, 0
	v_add_nc_u32_e32 v22, 0x5b, v27
	global_store_b32 v[15:16], v20, off
	v_mov_b32_e32 v15, v17
	v_add_co_u32 v9, vcc_lo, v24, v9
	v_mad_co_u64_u32 v[16:17], null, s4, v22, 0
	v_mov_b32_e32 v0, v19
	s_delay_alu instid0(VALU_DEP_4)
	v_lshlrev_b64_e32 v[14:15], 2, v[14:15]
	s_wait_alu 0xfffd
	v_add_co_ci_u32_e32 v10, vcc_lo, v25, v10, vcc_lo
	v_add_nc_u32_e32 v26, 0x68, v27
	v_mad_co_u64_u32 v[19:20], null, s5, v21, v[0:1]
	v_mov_b32_e32 v0, v17
	v_add_co_u32 v14, vcc_lo, v24, v14
	v_pack_b32_f16 v23, v65, v41
	s_wait_alu 0xfffd
	v_add_co_ci_u32_e32 v15, vcc_lo, v25, v15, vcc_lo
	v_mad_co_u64_u32 v[20:21], null, s5, v22, v[0:1]
	v_pack_b32_f16 v17, v46, v42
	v_mad_co_u64_u32 v[21:22], null, s4, v26, 0
	global_store_b32 v[9:10], v23, off
	v_lshlrev_b64_e32 v[9:10], 2, v[18:19]
	global_store_b32 v[14:15], v17, off
	v_dual_mov_b32 v17, v20 :: v_dual_add_nc_u32 v20, 0x75, v27
	v_pack_b32_f16 v19, v58, v56
	v_mov_b32_e32 v0, v22
	v_add_co_u32 v9, vcc_lo, v24, v9
	s_delay_alu instid0(VALU_DEP_4) | instskip(SKIP_4) | instid1(VALU_DEP_4)
	v_lshlrev_b64_e32 v[14:15], 2, v[16:17]
	s_wait_alu 0xfffd
	v_add_co_ci_u32_e32 v10, vcc_lo, v25, v10, vcc_lo
	v_mad_co_u64_u32 v[16:17], null, s5, v26, v[0:1]
	v_mad_co_u64_u32 v[17:18], null, s4, v20, 0
	v_add_co_u32 v14, vcc_lo, v24, v14
	v_add_nc_u32_e32 v23, 0x82, v27
	s_wait_alu 0xfffd
	v_add_co_ci_u32_e32 v15, vcc_lo, v25, v15, vcc_lo
	v_pack_b32_f16 v0, v13, v115
	s_clause 0x1
	global_store_b32 v[9:10], v19, off
	global_store_b32 v[14:15], v0, off
	v_add_nc_u32_e32 v26, 0x8f, v27
	v_mad_co_u64_u32 v[13:14], null, s4, v23, 0
	v_dual_mov_b32 v0, v18 :: v_dual_add_nc_u32 v27, 0x9c, v27
	v_mov_b32_e32 v22, v16
	s_delay_alu instid0(VALU_DEP_4) | instskip(SKIP_1) | instid1(VALU_DEP_4)
	v_mad_co_u64_u32 v[15:16], null, s4, v26, 0
	v_pack_b32_f16 v28, v11, v12
	v_mad_co_u64_u32 v[11:12], null, s5, v20, v[0:1]
	v_mov_b32_e32 v0, v14
	v_mad_co_u64_u32 v[19:20], null, s4, v27, 0
	v_lshlrev_b64_e32 v[9:10], 2, v[21:22]
	v_mov_b32_e32 v12, v16
	s_delay_alu instid0(VALU_DEP_4) | instskip(SKIP_1) | instid1(VALU_DEP_4)
	v_mad_co_u64_u32 v[21:22], null, s5, v23, v[0:1]
	v_mov_b32_e32 v18, v11
	v_add_co_u32 v9, vcc_lo, v24, v9
	v_mov_b32_e32 v0, v20
	s_wait_alu 0xfffd
	v_add_co_ci_u32_e32 v10, vcc_lo, v25, v10, vcc_lo
	v_mad_co_u64_u32 v[22:23], null, s5, v26, v[12:13]
	v_mov_b32_e32 v14, v21
	v_mad_co_u64_u32 v[11:12], null, s5, v27, v[0:1]
	global_store_b32 v[9:10], v28, off
	v_lshlrev_b64_e32 v[9:10], 2, v[17:18]
	v_lshlrev_b64_e32 v[12:13], 2, v[13:14]
	v_mov_b32_e32 v16, v22
	v_pack_b32_f16 v0, v7, v8
	v_pack_b32_f16 v14, v3, v4
	v_mov_b32_e32 v20, v11
	v_add_co_u32 v9, vcc_lo, v24, v9
	s_wait_alu 0xfffd
	v_add_co_ci_u32_e32 v10, vcc_lo, v25, v10, vcc_lo
	v_lshlrev_b64_e32 v[7:8], 2, v[15:16]
	v_add_co_u32 v11, vcc_lo, v24, v12
	s_wait_alu 0xfffd
	v_add_co_ci_u32_e32 v12, vcc_lo, v25, v13, vcc_lo
	v_pack_b32_f16 v13, v5, v6
	v_lshlrev_b64_e32 v[5:6], 2, v[19:20]
	v_add_co_u32 v7, vcc_lo, v24, v7
	s_wait_alu 0xfffd
	v_add_co_ci_u32_e32 v8, vcc_lo, v25, v8, vcc_lo
	v_pack_b32_f16 v1, v1, v2
	s_delay_alu instid0(VALU_DEP_4)
	v_add_co_u32 v3, vcc_lo, v24, v5
	s_wait_alu 0xfffd
	v_add_co_ci_u32_e32 v4, vcc_lo, v25, v6, vcc_lo
	s_clause 0x3
	global_store_b32 v[9:10], v0, off
	global_store_b32 v[11:12], v13, off
	;; [unrolled: 1-line block ×4, first 2 shown]
.LBB0_16:
	s_nop 0
	s_sendmsg sendmsg(MSG_DEALLOC_VGPRS)
	s_endpgm
	.section	.rodata,"a",@progbits
	.p2align	6, 0x0
	.amdhsa_kernel fft_rtc_back_len169_factors_13_13_wgs_156_tpt_13_half_ip_CI_sbcc_twdbase8_3step_dirReg
		.amdhsa_group_segment_fixed_size 0
		.amdhsa_private_segment_fixed_size 0
		.amdhsa_kernarg_size 96
		.amdhsa_user_sgpr_count 2
		.amdhsa_user_sgpr_dispatch_ptr 0
		.amdhsa_user_sgpr_queue_ptr 0
		.amdhsa_user_sgpr_kernarg_segment_ptr 1
		.amdhsa_user_sgpr_dispatch_id 0
		.amdhsa_user_sgpr_private_segment_size 0
		.amdhsa_wavefront_size32 1
		.amdhsa_uses_dynamic_stack 0
		.amdhsa_enable_private_segment 0
		.amdhsa_system_sgpr_workgroup_id_x 1
		.amdhsa_system_sgpr_workgroup_id_y 0
		.amdhsa_system_sgpr_workgroup_id_z 0
		.amdhsa_system_sgpr_workgroup_info 0
		.amdhsa_system_vgpr_workitem_id 0
		.amdhsa_next_free_vgpr 141
		.amdhsa_next_free_sgpr 51
		.amdhsa_reserve_vcc 1
		.amdhsa_float_round_mode_32 0
		.amdhsa_float_round_mode_16_64 0
		.amdhsa_float_denorm_mode_32 3
		.amdhsa_float_denorm_mode_16_64 3
		.amdhsa_fp16_overflow 0
		.amdhsa_workgroup_processor_mode 1
		.amdhsa_memory_ordered 1
		.amdhsa_forward_progress 0
		.amdhsa_round_robin_scheduling 0
		.amdhsa_exception_fp_ieee_invalid_op 0
		.amdhsa_exception_fp_denorm_src 0
		.amdhsa_exception_fp_ieee_div_zero 0
		.amdhsa_exception_fp_ieee_overflow 0
		.amdhsa_exception_fp_ieee_underflow 0
		.amdhsa_exception_fp_ieee_inexact 0
		.amdhsa_exception_int_div_zero 0
	.end_amdhsa_kernel
	.text
.Lfunc_end0:
	.size	fft_rtc_back_len169_factors_13_13_wgs_156_tpt_13_half_ip_CI_sbcc_twdbase8_3step_dirReg, .Lfunc_end0-fft_rtc_back_len169_factors_13_13_wgs_156_tpt_13_half_ip_CI_sbcc_twdbase8_3step_dirReg
                                        ; -- End function
	.section	.AMDGPU.csdata,"",@progbits
; Kernel info:
; codeLenInByte = 12916
; NumSgprs: 53
; NumVgprs: 141
; ScratchSize: 0
; MemoryBound: 0
; FloatMode: 240
; IeeeMode: 1
; LDSByteSize: 0 bytes/workgroup (compile time only)
; SGPRBlocks: 6
; VGPRBlocks: 17
; NumSGPRsForWavesPerEU: 53
; NumVGPRsForWavesPerEU: 141
; Occupancy: 10
; WaveLimiterHint : 1
; COMPUTE_PGM_RSRC2:SCRATCH_EN: 0
; COMPUTE_PGM_RSRC2:USER_SGPR: 2
; COMPUTE_PGM_RSRC2:TRAP_HANDLER: 0
; COMPUTE_PGM_RSRC2:TGID_X_EN: 1
; COMPUTE_PGM_RSRC2:TGID_Y_EN: 0
; COMPUTE_PGM_RSRC2:TGID_Z_EN: 0
; COMPUTE_PGM_RSRC2:TIDIG_COMP_CNT: 0
	.text
	.p2alignl 7, 3214868480
	.fill 96, 4, 3214868480
	.type	__hip_cuid_4b2c28f1180418cc,@object ; @__hip_cuid_4b2c28f1180418cc
	.section	.bss,"aw",@nobits
	.globl	__hip_cuid_4b2c28f1180418cc
__hip_cuid_4b2c28f1180418cc:
	.byte	0                               ; 0x0
	.size	__hip_cuid_4b2c28f1180418cc, 1

	.ident	"AMD clang version 19.0.0git (https://github.com/RadeonOpenCompute/llvm-project roc-6.4.0 25133 c7fe45cf4b819c5991fe208aaa96edf142730f1d)"
	.section	".note.GNU-stack","",@progbits
	.addrsig
	.addrsig_sym __hip_cuid_4b2c28f1180418cc
	.amdgpu_metadata
---
amdhsa.kernels:
  - .args:
      - .actual_access:  read_only
        .address_space:  global
        .offset:         0
        .size:           8
        .value_kind:     global_buffer
      - .address_space:  global
        .offset:         8
        .size:           8
        .value_kind:     global_buffer
      - .offset:         16
        .size:           8
        .value_kind:     by_value
      - .actual_access:  read_only
        .address_space:  global
        .offset:         24
        .size:           8
        .value_kind:     global_buffer
      - .actual_access:  read_only
        .address_space:  global
        .offset:         32
        .size:           8
        .value_kind:     global_buffer
      - .offset:         40
        .size:           8
        .value_kind:     by_value
      - .actual_access:  read_only
        .address_space:  global
        .offset:         48
        .size:           8
        .value_kind:     global_buffer
      - .actual_access:  read_only
        .address_space:  global
        .offset:         56
        .size:           8
        .value_kind:     global_buffer
      - .offset:         64
        .size:           4
        .value_kind:     by_value
      - .actual_access:  read_only
        .address_space:  global
        .offset:         72
        .size:           8
        .value_kind:     global_buffer
      - .actual_access:  read_only
        .address_space:  global
        .offset:         80
        .size:           8
        .value_kind:     global_buffer
      - .address_space:  global
        .offset:         88
        .size:           8
        .value_kind:     global_buffer
    .group_segment_fixed_size: 0
    .kernarg_segment_align: 8
    .kernarg_segment_size: 96
    .language:       OpenCL C
    .language_version:
      - 2
      - 0
    .max_flat_workgroup_size: 156
    .name:           fft_rtc_back_len169_factors_13_13_wgs_156_tpt_13_half_ip_CI_sbcc_twdbase8_3step_dirReg
    .private_segment_fixed_size: 0
    .sgpr_count:     53
    .sgpr_spill_count: 0
    .symbol:         fft_rtc_back_len169_factors_13_13_wgs_156_tpt_13_half_ip_CI_sbcc_twdbase8_3step_dirReg.kd
    .uniform_work_group_size: 1
    .uses_dynamic_stack: false
    .vgpr_count:     141
    .vgpr_spill_count: 0
    .wavefront_size: 32
    .workgroup_processor_mode: 1
amdhsa.target:   amdgcn-amd-amdhsa--gfx1201
amdhsa.version:
  - 1
  - 2
...

	.end_amdgpu_metadata
